;; amdgpu-corpus repo=ROCm/rocFFT kind=compiled arch=gfx1201 opt=O3
	.text
	.amdgcn_target "amdgcn-amd-amdhsa--gfx1201"
	.amdhsa_code_object_version 6
	.protected	fft_rtc_back_len1014_factors_13_6_13_wgs_156_tpt_78_half_op_CI_CI_unitstride_sbrr_C2R_dirReg ; -- Begin function fft_rtc_back_len1014_factors_13_6_13_wgs_156_tpt_78_half_op_CI_CI_unitstride_sbrr_C2R_dirReg
	.globl	fft_rtc_back_len1014_factors_13_6_13_wgs_156_tpt_78_half_op_CI_CI_unitstride_sbrr_C2R_dirReg
	.p2align	8
	.type	fft_rtc_back_len1014_factors_13_6_13_wgs_156_tpt_78_half_op_CI_CI_unitstride_sbrr_C2R_dirReg,@function
fft_rtc_back_len1014_factors_13_6_13_wgs_156_tpt_78_half_op_CI_CI_unitstride_sbrr_C2R_dirReg: ; @fft_rtc_back_len1014_factors_13_6_13_wgs_156_tpt_78_half_op_CI_CI_unitstride_sbrr_C2R_dirReg
; %bb.0:
	s_clause 0x2
	s_load_b128 s[8:11], s[0:1], 0x0
	s_load_b128 s[4:7], s[0:1], 0x58
	;; [unrolled: 1-line block ×3, first 2 shown]
	v_mul_u32_u24_e32 v1, 0x349, v0
	v_mov_b32_e32 v3, 0
	v_mov_b32_e32 v7, 0
	;; [unrolled: 1-line block ×3, first 2 shown]
	s_delay_alu instid0(VALU_DEP_4) | instskip(NEXT) | instid1(VALU_DEP_4)
	v_lshrrev_b32_e32 v11, 16, v1
	v_mov_b32_e32 v10, v3
	s_delay_alu instid0(VALU_DEP_2) | instskip(SKIP_2) | instid1(VALU_DEP_1)
	v_lshl_add_u32 v9, ttmp9, 1, v11
	s_wait_kmcnt 0x0
	v_cmp_lt_u64_e64 s2, s[10:11], 2
	s_and_b32 vcc_lo, exec_lo, s2
	s_cbranch_vccnz .LBB0_8
; %bb.1:
	s_load_b64 s[2:3], s[0:1], 0x10
	v_mov_b32_e32 v7, 0
	v_mov_b32_e32 v8, 0
	s_delay_alu instid0(VALU_DEP_2)
	v_mov_b32_e32 v1, v7
	s_add_nc_u64 s[16:17], s[14:15], 8
	s_add_nc_u64 s[18:19], s[12:13], 8
	s_mov_b64 s[20:21], 1
	v_mov_b32_e32 v2, v8
	s_wait_kmcnt 0x0
	s_add_nc_u64 s[22:23], s[2:3], 8
	s_mov_b32 s3, 0
.LBB0_2:                                ; =>This Inner Loop Header: Depth=1
	s_load_b64 s[24:25], s[22:23], 0x0
                                        ; implicit-def: $vgpr5_vgpr6
	s_mov_b32 s2, exec_lo
	s_wait_kmcnt 0x0
	v_or_b32_e32 v4, s25, v10
	s_delay_alu instid0(VALU_DEP_1)
	v_cmpx_ne_u64_e32 0, v[3:4]
	s_wait_alu 0xfffe
	s_xor_b32 s26, exec_lo, s2
	s_cbranch_execz .LBB0_4
; %bb.3:                                ;   in Loop: Header=BB0_2 Depth=1
	s_cvt_f32_u32 s2, s24
	s_cvt_f32_u32 s27, s25
	s_sub_nc_u64 s[30:31], 0, s[24:25]
	s_wait_alu 0xfffe
	s_delay_alu instid0(SALU_CYCLE_1) | instskip(SKIP_1) | instid1(SALU_CYCLE_2)
	s_fmamk_f32 s2, s27, 0x4f800000, s2
	s_wait_alu 0xfffe
	v_s_rcp_f32 s2, s2
	s_delay_alu instid0(TRANS32_DEP_1) | instskip(SKIP_1) | instid1(SALU_CYCLE_2)
	s_mul_f32 s2, s2, 0x5f7ffffc
	s_wait_alu 0xfffe
	s_mul_f32 s27, s2, 0x2f800000
	s_wait_alu 0xfffe
	s_delay_alu instid0(SALU_CYCLE_2) | instskip(SKIP_1) | instid1(SALU_CYCLE_2)
	s_trunc_f32 s27, s27
	s_wait_alu 0xfffe
	s_fmamk_f32 s2, s27, 0xcf800000, s2
	s_cvt_u32_f32 s29, s27
	s_wait_alu 0xfffe
	s_delay_alu instid0(SALU_CYCLE_1) | instskip(SKIP_1) | instid1(SALU_CYCLE_2)
	s_cvt_u32_f32 s28, s2
	s_wait_alu 0xfffe
	s_mul_u64 s[34:35], s[30:31], s[28:29]
	s_wait_alu 0xfffe
	s_mul_hi_u32 s37, s28, s35
	s_mul_i32 s36, s28, s35
	s_mul_hi_u32 s2, s28, s34
	s_mul_i32 s33, s29, s34
	s_wait_alu 0xfffe
	s_add_nc_u64 s[36:37], s[2:3], s[36:37]
	s_mul_hi_u32 s27, s29, s34
	s_mul_hi_u32 s38, s29, s35
	s_add_co_u32 s2, s36, s33
	s_wait_alu 0xfffe
	s_add_co_ci_u32 s2, s37, s27
	s_mul_i32 s34, s29, s35
	s_add_co_ci_u32 s35, s38, 0
	s_wait_alu 0xfffe
	s_add_nc_u64 s[34:35], s[2:3], s[34:35]
	s_wait_alu 0xfffe
	v_add_co_u32 v4, s2, s28, s34
	s_delay_alu instid0(VALU_DEP_1) | instskip(SKIP_1) | instid1(VALU_DEP_1)
	s_cmp_lg_u32 s2, 0
	s_add_co_ci_u32 s29, s29, s35
	v_readfirstlane_b32 s28, v4
	s_wait_alu 0xfffe
	s_delay_alu instid0(VALU_DEP_1)
	s_mul_u64 s[30:31], s[30:31], s[28:29]
	s_wait_alu 0xfffe
	s_mul_hi_u32 s35, s28, s31
	s_mul_i32 s34, s28, s31
	s_mul_hi_u32 s2, s28, s30
	s_mul_i32 s33, s29, s30
	s_wait_alu 0xfffe
	s_add_nc_u64 s[34:35], s[2:3], s[34:35]
	s_mul_hi_u32 s27, s29, s30
	s_mul_hi_u32 s28, s29, s31
	s_wait_alu 0xfffe
	s_add_co_u32 s2, s34, s33
	s_add_co_ci_u32 s2, s35, s27
	s_mul_i32 s30, s29, s31
	s_add_co_ci_u32 s31, s28, 0
	s_wait_alu 0xfffe
	s_add_nc_u64 s[30:31], s[2:3], s[30:31]
	s_wait_alu 0xfffe
	v_add_co_u32 v6, s2, v4, s30
	s_delay_alu instid0(VALU_DEP_1) | instskip(SKIP_1) | instid1(VALU_DEP_1)
	s_cmp_lg_u32 s2, 0
	s_add_co_ci_u32 s2, s29, s31
	v_mul_hi_u32 v16, v9, v6
	s_wait_alu 0xfffe
	v_mad_co_u64_u32 v[4:5], null, v9, s2, 0
	v_mad_co_u64_u32 v[12:13], null, v10, v6, 0
	;; [unrolled: 1-line block ×3, first 2 shown]
	s_delay_alu instid0(VALU_DEP_3) | instskip(SKIP_1) | instid1(VALU_DEP_4)
	v_add_co_u32 v4, vcc_lo, v16, v4
	s_wait_alu 0xfffd
	v_add_co_ci_u32_e32 v5, vcc_lo, 0, v5, vcc_lo
	s_delay_alu instid0(VALU_DEP_2) | instskip(SKIP_1) | instid1(VALU_DEP_2)
	v_add_co_u32 v4, vcc_lo, v4, v12
	s_wait_alu 0xfffd
	v_add_co_ci_u32_e32 v4, vcc_lo, v5, v13, vcc_lo
	s_wait_alu 0xfffd
	v_add_co_ci_u32_e32 v5, vcc_lo, 0, v15, vcc_lo
	s_delay_alu instid0(VALU_DEP_2) | instskip(SKIP_1) | instid1(VALU_DEP_2)
	v_add_co_u32 v12, vcc_lo, v4, v14
	s_wait_alu 0xfffd
	v_add_co_ci_u32_e32 v6, vcc_lo, 0, v5, vcc_lo
	s_delay_alu instid0(VALU_DEP_2) | instskip(SKIP_1) | instid1(VALU_DEP_3)
	v_mul_lo_u32 v13, s25, v12
	v_mad_co_u64_u32 v[4:5], null, s24, v12, 0
	v_mul_lo_u32 v14, s24, v6
	s_delay_alu instid0(VALU_DEP_2) | instskip(NEXT) | instid1(VALU_DEP_2)
	v_sub_co_u32 v4, vcc_lo, v9, v4
	v_add3_u32 v5, v5, v14, v13
	s_delay_alu instid0(VALU_DEP_1) | instskip(SKIP_1) | instid1(VALU_DEP_1)
	v_sub_nc_u32_e32 v13, v10, v5
	s_wait_alu 0xfffd
	v_subrev_co_ci_u32_e64 v13, s2, s25, v13, vcc_lo
	v_add_co_u32 v14, s2, v12, 2
	s_wait_alu 0xf1ff
	v_add_co_ci_u32_e64 v15, s2, 0, v6, s2
	v_sub_co_u32 v16, s2, v4, s24
	v_sub_co_ci_u32_e32 v5, vcc_lo, v10, v5, vcc_lo
	s_wait_alu 0xf1ff
	v_subrev_co_ci_u32_e64 v13, s2, 0, v13, s2
	s_delay_alu instid0(VALU_DEP_3) | instskip(NEXT) | instid1(VALU_DEP_3)
	v_cmp_le_u32_e32 vcc_lo, s24, v16
	v_cmp_eq_u32_e64 s2, s25, v5
	s_wait_alu 0xfffd
	v_cndmask_b32_e64 v16, 0, -1, vcc_lo
	v_cmp_le_u32_e32 vcc_lo, s25, v13
	s_wait_alu 0xfffd
	v_cndmask_b32_e64 v17, 0, -1, vcc_lo
	v_cmp_le_u32_e32 vcc_lo, s24, v4
	;; [unrolled: 3-line block ×3, first 2 shown]
	s_wait_alu 0xfffd
	v_cndmask_b32_e64 v18, 0, -1, vcc_lo
	v_cmp_eq_u32_e32 vcc_lo, s25, v13
	s_wait_alu 0xf1ff
	s_delay_alu instid0(VALU_DEP_2)
	v_cndmask_b32_e64 v4, v18, v4, s2
	s_wait_alu 0xfffd
	v_cndmask_b32_e32 v13, v17, v16, vcc_lo
	v_add_co_u32 v16, vcc_lo, v12, 1
	s_wait_alu 0xfffd
	v_add_co_ci_u32_e32 v17, vcc_lo, 0, v6, vcc_lo
	s_delay_alu instid0(VALU_DEP_3) | instskip(SKIP_1) | instid1(VALU_DEP_2)
	v_cmp_ne_u32_e32 vcc_lo, 0, v13
	s_wait_alu 0xfffd
	v_cndmask_b32_e32 v5, v17, v15, vcc_lo
	v_cndmask_b32_e32 v13, v16, v14, vcc_lo
	v_cmp_ne_u32_e32 vcc_lo, 0, v4
	s_wait_alu 0xfffd
	s_delay_alu instid0(VALU_DEP_3) | instskip(NEXT) | instid1(VALU_DEP_3)
	v_cndmask_b32_e32 v6, v6, v5, vcc_lo
	v_cndmask_b32_e32 v5, v12, v13, vcc_lo
.LBB0_4:                                ;   in Loop: Header=BB0_2 Depth=1
	s_wait_alu 0xfffe
	s_and_not1_saveexec_b32 s2, s26
	s_cbranch_execz .LBB0_6
; %bb.5:                                ;   in Loop: Header=BB0_2 Depth=1
	v_cvt_f32_u32_e32 v4, s24
	s_sub_co_i32 s26, 0, s24
	s_delay_alu instid0(VALU_DEP_1) | instskip(NEXT) | instid1(TRANS32_DEP_1)
	v_rcp_iflag_f32_e32 v4, v4
	v_mul_f32_e32 v4, 0x4f7ffffe, v4
	s_delay_alu instid0(VALU_DEP_1) | instskip(SKIP_1) | instid1(VALU_DEP_1)
	v_cvt_u32_f32_e32 v4, v4
	s_wait_alu 0xfffe
	v_mul_lo_u32 v5, s26, v4
	s_delay_alu instid0(VALU_DEP_1) | instskip(NEXT) | instid1(VALU_DEP_1)
	v_mul_hi_u32 v5, v4, v5
	v_add_nc_u32_e32 v4, v4, v5
	s_delay_alu instid0(VALU_DEP_1) | instskip(NEXT) | instid1(VALU_DEP_1)
	v_mul_hi_u32 v4, v9, v4
	v_mul_lo_u32 v5, v4, s24
	v_add_nc_u32_e32 v6, 1, v4
	s_delay_alu instid0(VALU_DEP_2) | instskip(NEXT) | instid1(VALU_DEP_1)
	v_sub_nc_u32_e32 v5, v9, v5
	v_subrev_nc_u32_e32 v12, s24, v5
	v_cmp_le_u32_e32 vcc_lo, s24, v5
	s_wait_alu 0xfffd
	s_delay_alu instid0(VALU_DEP_2) | instskip(NEXT) | instid1(VALU_DEP_1)
	v_dual_cndmask_b32 v5, v5, v12 :: v_dual_cndmask_b32 v4, v4, v6
	v_cmp_le_u32_e32 vcc_lo, s24, v5
	s_delay_alu instid0(VALU_DEP_2) | instskip(SKIP_1) | instid1(VALU_DEP_1)
	v_add_nc_u32_e32 v6, 1, v4
	s_wait_alu 0xfffd
	v_dual_cndmask_b32 v5, v4, v6 :: v_dual_mov_b32 v6, v3
.LBB0_6:                                ;   in Loop: Header=BB0_2 Depth=1
	s_wait_alu 0xfffe
	s_or_b32 exec_lo, exec_lo, s2
	s_delay_alu instid0(VALU_DEP_1) | instskip(NEXT) | instid1(VALU_DEP_2)
	v_mul_lo_u32 v4, v6, s24
	v_mul_lo_u32 v14, v5, s25
	s_load_b64 s[26:27], s[18:19], 0x0
	v_mad_co_u64_u32 v[12:13], null, v5, s24, 0
	s_load_b64 s[24:25], s[16:17], 0x0
	s_add_nc_u64 s[20:21], s[20:21], 1
	s_add_nc_u64 s[16:17], s[16:17], 8
	s_wait_alu 0xfffe
	v_cmp_ge_u64_e64 s2, s[20:21], s[10:11]
	s_add_nc_u64 s[18:19], s[18:19], 8
	s_add_nc_u64 s[22:23], s[22:23], 8
	v_add3_u32 v4, v13, v14, v4
	v_sub_co_u32 v9, vcc_lo, v9, v12
	s_wait_alu 0xfffd
	s_delay_alu instid0(VALU_DEP_2) | instskip(SKIP_2) | instid1(VALU_DEP_1)
	v_sub_co_ci_u32_e32 v4, vcc_lo, v10, v4, vcc_lo
	s_and_b32 vcc_lo, exec_lo, s2
	s_wait_kmcnt 0x0
	v_mul_lo_u32 v10, s26, v4
	v_mul_lo_u32 v12, s27, v9
	v_mad_co_u64_u32 v[7:8], null, s26, v9, v[7:8]
	v_mul_lo_u32 v4, s24, v4
	v_mul_lo_u32 v13, s25, v9
	v_mad_co_u64_u32 v[1:2], null, s24, v9, v[1:2]
	s_delay_alu instid0(VALU_DEP_4) | instskip(NEXT) | instid1(VALU_DEP_2)
	v_add3_u32 v8, v12, v8, v10
	v_add3_u32 v2, v13, v2, v4
	s_wait_alu 0xfffe
	s_cbranch_vccnz .LBB0_9
; %bb.7:                                ;   in Loop: Header=BB0_2 Depth=1
	v_dual_mov_b32 v10, v6 :: v_dual_mov_b32 v9, v5
	s_branch .LBB0_2
.LBB0_8:
	v_dual_mov_b32 v1, v7 :: v_dual_mov_b32 v2, v8
	v_dual_mov_b32 v5, v9 :: v_dual_mov_b32 v6, v10
.LBB0_9:
	s_load_b64 s[0:1], s[0:1], 0x28
	v_and_b32_e32 v3, 1, v11
	v_mul_hi_u32 v9, 0x3483484, v0
	s_lshl_b64 s[10:11], s[10:11], 3
	s_wait_alu 0xfffe
	s_add_nc_u64 s[2:3], s[14:15], s[10:11]
	s_wait_kmcnt 0x0
	v_cmp_gt_u64_e32 vcc_lo, s[0:1], v[5:6]
	v_cmp_le_u64_e64 s1, s[0:1], v[5:6]
	v_cmp_eq_u32_e64 s0, 1, v3
                                        ; implicit-def: $vgpr3
	s_delay_alu instid0(VALU_DEP_2) | instskip(NEXT) | instid1(SALU_CYCLE_1)
	s_and_saveexec_b32 s14, s1
	s_xor_b32 s1, exec_lo, s14
; %bb.10:
	v_mul_u32_u24_e32 v3, 0x4e, v9
                                        ; implicit-def: $vgpr9
                                        ; implicit-def: $vgpr7_vgpr8
	s_delay_alu instid0(VALU_DEP_1)
	v_sub_nc_u32_e32 v3, v0, v3
                                        ; implicit-def: $vgpr0
; %bb.11:
	s_wait_alu 0xfffe
	s_or_saveexec_b32 s1, s1
	s_load_b64 s[2:3], s[2:3], 0x0
	v_cndmask_b32_e64 v4, 0, 0x3f7, s0
	s_delay_alu instid0(VALU_DEP_1)
	v_lshlrev_b32_e32 v24, 2, v4
	s_xor_b32 exec_lo, exec_lo, s1
	s_cbranch_execz .LBB0_15
; %bb.12:
	s_add_nc_u64 s[10:11], s[12:13], s[10:11]
	v_lshlrev_b64_e32 v[7:8], 2, v[7:8]
	s_load_b64 s[10:11], s[10:11], 0x0
	s_wait_kmcnt 0x0
	v_mul_lo_u32 v3, s11, v5
	v_mul_lo_u32 v12, s10, v6
	v_mad_co_u64_u32 v[10:11], null, s10, v5, 0
	s_delay_alu instid0(VALU_DEP_1) | instskip(SKIP_1) | instid1(VALU_DEP_2)
	v_add3_u32 v11, v11, v12, v3
	v_mul_u32_u24_e32 v3, 0x4e, v9
	v_lshlrev_b64_e32 v[9:10], 2, v[10:11]
	s_delay_alu instid0(VALU_DEP_2) | instskip(NEXT) | instid1(VALU_DEP_1)
	v_sub_nc_u32_e32 v3, v0, v3
	v_lshlrev_b32_e32 v11, 2, v3
	s_delay_alu instid0(VALU_DEP_3) | instskip(SKIP_1) | instid1(VALU_DEP_4)
	v_add_co_u32 v0, s0, s4, v9
	s_wait_alu 0xf1ff
	v_add_co_ci_u32_e64 v9, s0, s5, v10, s0
	s_mov_b32 s4, exec_lo
	s_delay_alu instid0(VALU_DEP_2) | instskip(SKIP_1) | instid1(VALU_DEP_2)
	v_add_co_u32 v7, s0, v0, v7
	s_wait_alu 0xf1ff
	v_add_co_ci_u32_e64 v8, s0, v9, v8, s0
	v_add3_u32 v0, 0, v24, v11
	s_delay_alu instid0(VALU_DEP_3) | instskip(SKIP_1) | instid1(VALU_DEP_3)
	v_add_co_u32 v9, s0, v7, v11
	s_wait_alu 0xf1ff
	v_add_co_ci_u32_e64 v10, s0, 0, v8, s0
	s_clause 0xc
	global_load_b32 v12, v[9:10], off
	global_load_b32 v13, v[9:10], off offset:312
	global_load_b32 v14, v[9:10], off offset:624
	;; [unrolled: 1-line block ×12, first 2 shown]
	v_add_nc_u32_e32 v10, 0x400, v0
	v_add_nc_u32_e32 v11, 0x600, v0
	;; [unrolled: 1-line block ×4, first 2 shown]
	s_wait_loadcnt 0xb
	ds_store_2addr_b32 v0, v12, v13 offset1:78
	s_wait_loadcnt 0x9
	ds_store_2addr_b32 v0, v14, v15 offset0:156 offset1:234
	s_wait_loadcnt 0x7
	ds_store_2addr_b32 v10, v16, v17 offset0:56 offset1:134
	;; [unrolled: 2-line block ×5, first 2 shown]
	s_wait_loadcnt 0x0
	ds_store_b32 v0, v9 offset:3744
	v_cmpx_eq_u32_e32 0x4d, v3
	s_cbranch_execz .LBB0_14
; %bb.13:
	global_load_b32 v7, v[7:8], off offset:4056
	v_mov_b32_e32 v3, 0x4d
	s_wait_loadcnt 0x0
	ds_store_b32 v0, v7 offset:3748
.LBB0_14:
	s_wait_alu 0xfffe
	s_or_b32 exec_lo, exec_lo, s4
.LBB0_15:
	s_delay_alu instid0(SALU_CYCLE_1)
	s_or_b32 exec_lo, exec_lo, s1
	v_lshl_add_u32 v0, v4, 2, 0
	v_lshlrev_b32_e32 v9, 2, v3
	global_wb scope:SCOPE_SE
	s_wait_dscnt 0x0
	s_wait_kmcnt 0x0
	s_barrier_signal -1
	s_barrier_wait -1
	global_inv scope:SCOPE_SE
	v_add_nc_u32_e32 v23, v0, v9
	v_sub_nc_u32_e32 v10, v0, v9
	s_mov_b32 s1, exec_lo
                                        ; implicit-def: $vgpr7_vgpr8
	ds_load_u16 v13, v23
	ds_load_u16 v14, v10 offset:4056
	s_wait_dscnt 0x0
	v_add_f16_e32 v12, v14, v13
	v_sub_f16_e32 v11, v13, v14
	v_cmpx_ne_u32_e32 0, v3
	s_wait_alu 0xfffe
	s_xor_b32 s1, exec_lo, s1
	s_cbranch_execz .LBB0_17
; %bb.16:
	v_mov_b32_e32 v4, 0
	v_add_f16_e32 v12, v14, v13
	v_sub_f16_e32 v13, v13, v14
	s_delay_alu instid0(VALU_DEP_3) | instskip(NEXT) | instid1(VALU_DEP_1)
	v_lshlrev_b64_e32 v[7:8], 2, v[3:4]
	v_add_co_u32 v7, s0, s8, v7
	s_wait_alu 0xf1ff
	s_delay_alu instid0(VALU_DEP_2)
	v_add_co_ci_u32_e64 v8, s0, s9, v8, s0
	global_load_b32 v7, v[7:8], off offset:4004
	ds_load_u16 v8, v10 offset:4058
	ds_load_u16 v11, v23 offset:2
	s_wait_dscnt 0x0
	v_add_f16_e32 v14, v8, v11
	v_sub_f16_e32 v8, v11, v8
	s_wait_loadcnt 0x0
	v_lshrrev_b32_e32 v15, 16, v7
	s_delay_alu instid0(VALU_DEP_1) | instskip(NEXT) | instid1(VALU_DEP_3)
	v_fma_f16 v16, -v13, v15, v12
	v_fma_f16 v17, v14, v15, -v8
	v_fma_f16 v11, v14, v15, v8
	v_fma_f16 v12, v13, v15, v12
	s_delay_alu instid0(VALU_DEP_4) | instskip(NEXT) | instid1(VALU_DEP_4)
	v_fmac_f16_e32 v16, v7, v14
	v_fmac_f16_e32 v17, v13, v7
	s_delay_alu instid0(VALU_DEP_4) | instskip(NEXT) | instid1(VALU_DEP_4)
	v_fmac_f16_e32 v11, v13, v7
	v_fma_f16 v12, -v7, v14, v12
	v_dual_mov_b32 v8, v4 :: v_dual_mov_b32 v7, v3
	s_delay_alu instid0(VALU_DEP_4)
	v_pack_b32_f16 v13, v16, v17
	ds_store_b32 v10, v13 offset:4056
.LBB0_17:
	s_wait_alu 0xfffe
	s_and_not1_saveexec_b32 s0, s1
	s_cbranch_execz .LBB0_19
; %bb.18:
	ds_load_b32 v4, v0 offset:2028
	v_mov_b32_e32 v7, 0
	v_mov_b32_e32 v8, 0
	s_wait_dscnt 0x0
	v_pk_mul_f16 v4, 0xc0004000, v4
	ds_store_b32 v0, v4 offset:2028
.LBB0_19:
	s_wait_alu 0xfffe
	s_or_b32 exec_lo, exec_lo, s0
	v_lshlrev_b64_e32 v[7:8], 2, v[7:8]
	s_add_nc_u64 s[0:1], s[8:9], 0xfa4
	v_perm_b32 v11, v11, v12, 0x5040100
	s_wait_alu 0xfffe
	s_delay_alu instid0(VALU_DEP_2)
	v_add_co_u32 v7, s0, s0, v7
	s_wait_alu 0xf1ff
	v_add_co_ci_u32_e64 v8, s0, s1, v8, s0
	s_mov_b32 s1, exec_lo
	s_clause 0x4
	global_load_b32 v4, v[7:8], off offset:312
	global_load_b32 v13, v[7:8], off offset:624
	;; [unrolled: 1-line block ×5, first 2 shown]
	ds_store_b32 v23, v11
	ds_load_b32 v11, v23 offset:312
	ds_load_b32 v12, v10 offset:3744
	s_wait_dscnt 0x1
	v_lshrrev_b32_e32 v17, 16, v11
	s_wait_dscnt 0x0
	v_lshrrev_b32_e32 v18, 16, v12
	v_add_f16_e32 v19, v11, v12
	v_sub_f16_e32 v11, v11, v12
	s_delay_alu instid0(VALU_DEP_3) | instskip(SKIP_3) | instid1(VALU_DEP_1)
	v_add_f16_e32 v12, v18, v17
	v_sub_f16_e32 v17, v17, v18
	s_wait_loadcnt 0x4
	v_lshrrev_b32_e32 v20, 16, v4
	v_fma_f16 v18, v11, v20, v19
	s_delay_alu instid0(VALU_DEP_3) | instskip(SKIP_2) | instid1(VALU_DEP_4)
	v_fma_f16 v21, v12, v20, v17
	v_fma_f16 v19, -v11, v20, v19
	v_fma_f16 v17, v12, v20, -v17
	v_fma_f16 v18, -v4, v12, v18
	s_delay_alu instid0(VALU_DEP_4) | instskip(NEXT) | instid1(VALU_DEP_4)
	v_fmac_f16_e32 v21, v11, v4
	v_fmac_f16_e32 v19, v4, v12
	s_delay_alu instid0(VALU_DEP_4) | instskip(NEXT) | instid1(VALU_DEP_3)
	v_fmac_f16_e32 v17, v11, v4
	v_pack_b32_f16 v4, v18, v21
	s_wait_loadcnt 0x3
	v_lshrrev_b32_e32 v18, 16, v13
	s_delay_alu instid0(VALU_DEP_3)
	v_pack_b32_f16 v11, v19, v17
	ds_store_b32 v23, v4 offset:312
	ds_store_b32 v10, v11 offset:3744
	ds_load_b32 v4, v23 offset:624
	ds_load_b32 v11, v10 offset:3432
	s_wait_dscnt 0x1
	v_lshrrev_b32_e32 v12, 16, v4
	s_wait_dscnt 0x0
	v_lshrrev_b32_e32 v17, 16, v11
	v_add_f16_e32 v19, v4, v11
	v_sub_f16_e32 v4, v4, v11
	s_delay_alu instid0(VALU_DEP_3) | instskip(SKIP_1) | instid1(VALU_DEP_3)
	v_add_f16_e32 v11, v17, v12
	v_sub_f16_e32 v12, v12, v17
	v_fma_f16 v17, v4, v18, v19
	v_fma_f16 v19, -v4, v18, v19
	s_delay_alu instid0(VALU_DEP_3) | instskip(SKIP_1) | instid1(VALU_DEP_4)
	v_fma_f16 v20, v11, v18, v12
	v_fma_f16 v12, v11, v18, -v12
	v_fma_f16 v17, -v13, v11, v17
	s_delay_alu instid0(VALU_DEP_4) | instskip(NEXT) | instid1(VALU_DEP_4)
	v_fmac_f16_e32 v19, v13, v11
	v_fmac_f16_e32 v20, v4, v13
	s_delay_alu instid0(VALU_DEP_4) | instskip(NEXT) | instid1(VALU_DEP_2)
	v_fmac_f16_e32 v12, v4, v13
	v_pack_b32_f16 v4, v17, v20
	s_delay_alu instid0(VALU_DEP_2)
	v_pack_b32_f16 v11, v19, v12
	ds_store_b32 v23, v4 offset:624
	ds_store_b32 v10, v11 offset:3432
	ds_load_b32 v4, v23 offset:936
	ds_load_b32 v11, v10 offset:3120
	s_wait_loadcnt 0x2
	v_lshrrev_b32_e32 v17, 16, v14
	s_wait_dscnt 0x1
	v_lshrrev_b32_e32 v12, 16, v4
	s_wait_dscnt 0x0
	v_lshrrev_b32_e32 v13, 16, v11
	v_add_f16_e32 v18, v4, v11
	v_sub_f16_e32 v4, v4, v11
	s_delay_alu instid0(VALU_DEP_3) | instskip(SKIP_1) | instid1(VALU_DEP_3)
	v_add_f16_e32 v11, v13, v12
	v_sub_f16_e32 v12, v12, v13
	v_fma_f16 v13, v4, v17, v18
	v_fma_f16 v18, -v4, v17, v18
	s_delay_alu instid0(VALU_DEP_3) | instskip(SKIP_1) | instid1(VALU_DEP_4)
	v_fma_f16 v19, v11, v17, v12
	v_fma_f16 v12, v11, v17, -v12
	v_fma_f16 v13, -v14, v11, v13
	s_delay_alu instid0(VALU_DEP_4) | instskip(NEXT) | instid1(VALU_DEP_4)
	v_fmac_f16_e32 v18, v14, v11
	v_fmac_f16_e32 v19, v4, v14
	s_delay_alu instid0(VALU_DEP_4) | instskip(SKIP_2) | instid1(VALU_DEP_3)
	v_fmac_f16_e32 v12, v4, v14
	s_wait_loadcnt 0x1
	v_lshrrev_b32_e32 v14, 16, v15
	v_pack_b32_f16 v4, v13, v19
	s_delay_alu instid0(VALU_DEP_3)
	v_pack_b32_f16 v11, v18, v12
	ds_store_b32 v23, v4 offset:936
	ds_store_b32 v10, v11 offset:3120
	ds_load_b32 v4, v23 offset:1248
	ds_load_b32 v11, v10 offset:2808
	s_wait_dscnt 0x1
	v_lshrrev_b32_e32 v12, 16, v4
	s_wait_dscnt 0x0
	v_lshrrev_b32_e32 v13, 16, v11
	v_add_f16_e32 v17, v4, v11
	v_sub_f16_e32 v4, v4, v11
	s_delay_alu instid0(VALU_DEP_3) | instskip(SKIP_1) | instid1(VALU_DEP_3)
	v_add_f16_e32 v11, v13, v12
	v_sub_f16_e32 v12, v12, v13
	v_fma_f16 v13, v4, v14, v17
	v_fma_f16 v17, -v4, v14, v17
	s_delay_alu instid0(VALU_DEP_3) | instskip(SKIP_1) | instid1(VALU_DEP_4)
	v_fma_f16 v18, v11, v14, v12
	v_fma_f16 v12, v11, v14, -v12
	v_fma_f16 v13, -v15, v11, v13
	s_delay_alu instid0(VALU_DEP_4) | instskip(SKIP_4) | instid1(VALU_DEP_2)
	v_fmac_f16_e32 v17, v15, v11
	s_wait_loadcnt 0x0
	v_lshrrev_b32_e32 v14, 16, v16
	v_fmac_f16_e32 v18, v4, v15
	v_fmac_f16_e32 v12, v4, v15
	v_pack_b32_f16 v4, v13, v18
	s_delay_alu instid0(VALU_DEP_2)
	v_pack_b32_f16 v11, v17, v12
	ds_store_b32 v23, v4 offset:1248
	ds_store_b32 v10, v11 offset:2808
	ds_load_b32 v4, v23 offset:1560
	ds_load_b32 v11, v10 offset:2496
	s_wait_dscnt 0x1
	v_lshrrev_b32_e32 v12, 16, v4
	s_wait_dscnt 0x0
	v_lshrrev_b32_e32 v13, 16, v11
	v_add_f16_e32 v15, v4, v11
	v_sub_f16_e32 v4, v4, v11
	s_delay_alu instid0(VALU_DEP_3) | instskip(SKIP_1) | instid1(VALU_DEP_3)
	v_add_f16_e32 v11, v13, v12
	v_sub_f16_e32 v12, v12, v13
	v_fma_f16 v13, v4, v14, v15
	v_fma_f16 v15, -v4, v14, v15
	s_delay_alu instid0(VALU_DEP_3) | instskip(SKIP_1) | instid1(VALU_DEP_4)
	v_fma_f16 v17, v11, v14, v12
	v_fma_f16 v12, v11, v14, -v12
	v_fma_f16 v13, -v16, v11, v13
	s_delay_alu instid0(VALU_DEP_4) | instskip(NEXT) | instid1(VALU_DEP_4)
	v_fmac_f16_e32 v15, v16, v11
	v_fmac_f16_e32 v17, v4, v16
	s_delay_alu instid0(VALU_DEP_4) | instskip(NEXT) | instid1(VALU_DEP_2)
	v_fmac_f16_e32 v12, v4, v16
	v_pack_b32_f16 v4, v13, v17
	s_delay_alu instid0(VALU_DEP_2)
	v_pack_b32_f16 v11, v15, v12
	ds_store_b32 v23, v4 offset:1560
	ds_store_b32 v10, v11 offset:2496
	v_cmpx_gt_u32_e32 39, v3
	s_cbranch_execz .LBB0_21
; %bb.20:
	global_load_b32 v4, v[7:8], off offset:1872
	ds_load_b32 v7, v23 offset:1872
	ds_load_b32 v8, v10 offset:2184
	s_wait_dscnt 0x1
	v_lshrrev_b32_e32 v11, 16, v7
	s_wait_dscnt 0x0
	v_lshrrev_b32_e32 v12, 16, v8
	v_add_f16_e32 v13, v7, v8
	v_sub_f16_e32 v7, v7, v8
	s_delay_alu instid0(VALU_DEP_3) | instskip(SKIP_3) | instid1(VALU_DEP_1)
	v_add_f16_e32 v8, v12, v11
	v_sub_f16_e32 v11, v11, v12
	s_wait_loadcnt 0x0
	v_lshrrev_b32_e32 v14, 16, v4
	v_fma_f16 v12, v7, v14, v13
	s_delay_alu instid0(VALU_DEP_3) | instskip(SKIP_2) | instid1(VALU_DEP_4)
	v_fma_f16 v15, v8, v14, v11
	v_fma_f16 v13, -v7, v14, v13
	v_fma_f16 v11, v8, v14, -v11
	v_fma_f16 v12, -v4, v8, v12
	s_delay_alu instid0(VALU_DEP_4) | instskip(NEXT) | instid1(VALU_DEP_4)
	v_fmac_f16_e32 v15, v7, v4
	v_fmac_f16_e32 v13, v4, v8
	s_delay_alu instid0(VALU_DEP_4) | instskip(NEXT) | instid1(VALU_DEP_3)
	v_fmac_f16_e32 v11, v7, v4
	v_pack_b32_f16 v4, v12, v15
	s_delay_alu instid0(VALU_DEP_2)
	v_pack_b32_f16 v7, v13, v11
	ds_store_b32 v23, v4 offset:1872
	ds_store_b32 v10, v7 offset:2184
.LBB0_21:
	s_wait_alu 0xfffe
	s_or_b32 exec_lo, exec_lo, s1
	v_add3_u32 v4, 0, v9, v24
	global_wb scope:SCOPE_SE
	s_wait_dscnt 0x0
	s_barrier_signal -1
	s_barrier_wait -1
	global_inv scope:SCOPE_SE
	global_wb scope:SCOPE_SE
	s_barrier_signal -1
	s_barrier_wait -1
	global_inv scope:SCOPE_SE
	ds_load_b32 v7, v23
	ds_load_2addr_b32 v[14:15], v4 offset0:78 offset1:156
	v_add_nc_u32_e32 v9, 0xc00, v4
	v_add_nc_u32_e32 v8, 0x200, v4
	ds_load_2addr_b32 v[20:21], v9 offset0:90 offset1:168
	ds_load_2addr_b32 v[25:26], v8 offset0:106 offset1:184
	v_add_nc_u32_e32 v10, 0x400, v4
	v_add_nc_u32_e32 v11, 0x800, v4
	;; [unrolled: 1-line block ×3, first 2 shown]
	ds_load_2addr_b32 v[27:28], v10 offset0:134 offset1:212
	ds_load_2addr_b32 v[29:30], v11 offset0:34 offset1:112
	;; [unrolled: 1-line block ×3, first 2 shown]
	v_mad_u32_u24 v13, v3, 48, v4
	global_wb scope:SCOPE_SE
	s_wait_dscnt 0x0
	s_barrier_signal -1
	s_barrier_wait -1
	global_inv scope:SCOPE_SE
	v_lshrrev_b32_e32 v22, 16, v7
	v_pk_add_f16 v16, v7, v14
	s_delay_alu instid0(VALU_DEP_1)
	v_pk_add_f16 v16, v16, v15
	v_pk_add_f16 v17, v14, v21 neg_lo:[0,1] neg_hi:[0,1]
	v_pk_add_f16 v18, v21, v14
	v_pk_add_f16 v33, v20, v15
	v_pk_add_f16 v19, v15, v20 neg_lo:[0,1] neg_hi:[0,1]
	v_pk_add_f16 v14, v16, v25
	v_lshrrev_b32_e32 v16, 16, v17
	v_pk_mul_f16 v15, 0xb770, v17 op_sel_hi:[0,1]
	v_lshrrev_b32_e32 v34, 16, v18
	v_pk_mul_f16 v35, 0xba95, v19 op_sel_hi:[0,1]
	v_pk_add_f16 v36, v14, v26
	v_mul_f16_e32 v37, 0xba95, v16
	v_mul_f16_e32 v39, 0xbbf1, v16
	;; [unrolled: 1-line block ×4, first 2 shown]
	v_pk_add_f16 v16, v36, v27
	v_pk_fma_f16 v14, 0x3b15, v18, v15 op_sel:[0,0,1] op_sel_hi:[0,1,0]
	v_pk_fma_f16 v15, 0x3b15, v18, v15 op_sel:[0,0,1] op_sel_hi:[0,1,0] neg_lo:[0,0,1] neg_hi:[0,0,1]
	v_mul_f16_e32 v38, 0x388b, v34
	v_fmamk_f16 v50, v18, 0xb9fd, v43
	v_pk_add_f16 v16, v16, v28
	v_mul_f16_e32 v40, 0x2fb7, v34
	v_mul_f16_e32 v42, 0xb5ac, v34
	;; [unrolled: 1-line block ×3, first 2 shown]
	v_bfi_b32 v36, 0xffff, v14, v15
	v_pk_add_f16 v16, v16, v29
	v_lshrrev_b32_e32 v53, 16, v33
	v_fmamk_f16 v44, v18, 0x388b, v37
	v_fmamk_f16 v45, v17, 0x3a95, v38
	v_fma_f16 v37, v18, 0x388b, -v37
	v_pk_add_f16 v16, v16, v30
	v_fmac_f16_e32 v38, 0xba95, v17
	v_fmamk_f16 v47, v17, 0x3bf1, v40
	v_fmac_f16_e32 v40, 0xbbf1, v17
	v_fmamk_f16 v49, v17, 0x3b7b, v42
	v_pk_add_f16 v16, v16, v31
	v_fmac_f16_e32 v42, 0xbb7b, v17
	v_fmamk_f16 v51, v17, 0x394e, v34
	v_pk_add_f16 v36, v7, v36
	v_fmac_f16_e32 v34, 0xb94e, v17
	v_pk_add_f16 v16, v16, v32
	v_mul_f16_e32 v56, 0xb5ac, v53
	v_fmamk_f16 v46, v18, 0x2fb7, v39
	v_fma_f16 v39, v18, 0x2fb7, -v39
	v_add_f16_e32 v44, v7, v44
	v_pk_add_f16 v16, v16, v20
	v_pk_fma_f16 v20, 0x388b, v33, v35 op_sel:[0,0,1] op_sel_hi:[0,1,0]
	v_pk_fma_f16 v35, 0x388b, v33, v35 op_sel:[0,0,1] op_sel_hi:[0,1,0] neg_lo:[0,0,1] neg_hi:[0,0,1]
	v_add_f16_e32 v45, v22, v45
	v_add_f16_e32 v37, v7, v37
	v_pk_add_f16 v16, v16, v21
	v_add_f16_e32 v21, v7, v50
	v_lshrrev_b32_e32 v50, 16, v19
	v_bfi_b32 v54, 0xffff, v20, v35
	v_add_f16_e32 v38, v22, v38
	v_add_f16_e32 v47, v22, v47
	v_add_f16_e32 v40, v22, v40
	v_mul_f16_e32 v52, 0xbb7b, v50
	v_add_f16_e32 v49, v22, v49
	v_add_f16_e32 v42, v22, v42
	;; [unrolled: 1-line block ×4, first 2 shown]
	v_fmamk_f16 v55, v33, 0xb5ac, v52
	v_pk_add_f16 v34, v54, v36
	v_mul_f16_e32 v36, 0xb3a8, v50
	v_fmamk_f16 v54, v19, 0x3b7b, v56
	v_fma_f16 v52, v33, 0xb5ac, -v52
	v_mul_f16_e32 v57, 0xbbc4, v53
	v_fmamk_f16 v48, v18, 0xb5ac, v41
	v_fma_f16 v41, v18, 0xb5ac, -v41
	v_add_f16_e32 v39, v7, v39
	v_add_f16_e32 v44, v55, v44
	v_fmamk_f16 v55, v33, 0xbbc4, v36
	v_add_f16_e32 v45, v54, v45
	v_add_f16_e32 v37, v52, v37
	v_fmamk_f16 v52, v19, 0x33a8, v57
	v_mul_f16_e32 v54, 0x394e, v50
	v_fma_f16 v36, v33, 0xbbc4, -v36
	v_fmac_f16_e32 v57, 0xb3a8, v19
	v_add_f16_e32 v46, v7, v46
	v_add_f16_e32 v48, v7, v48
	;; [unrolled: 1-line block ×4, first 2 shown]
	v_fmamk_f16 v52, v33, 0xb9fd, v54
	v_add_f16_e32 v36, v36, v39
	v_add_f16_e32 v39, v57, v40
	v_fma_f16 v40, v33, 0xb9fd, -v54
	v_mul_f16_e32 v50, 0x3bf1, v50
	v_fmac_f16_e32 v56, 0xbb7b, v19
	v_add_f16_e32 v46, v55, v46
	v_mul_f16_e32 v55, 0xb9fd, v53
	v_add_f16_e32 v48, v52, v48
	v_mul_f16_e32 v52, 0x2fb7, v53
	v_add_f16_e32 v40, v40, v41
	v_pk_add_f16 v41, v25, v32 neg_lo:[0,1] neg_hi:[0,1]
	v_fmamk_f16 v53, v33, 0x2fb7, v50
	v_fma_f16 v43, v18, 0xb9fd, -v43
	v_add_f16_e32 v38, v56, v38
	v_fmamk_f16 v56, v19, 0xb94e, v55
	v_fmac_f16_e32 v55, 0x394e, v19
	v_pk_add_f16 v25, v32, v25
	v_add_f16_e32 v21, v53, v21
	v_lshrrev_b32_e32 v53, 16, v41
	v_add_f16_e32 v43, v7, v43
	v_add_f16_e32 v49, v56, v49
	;; [unrolled: 1-line block ×3, first 2 shown]
	v_fma_f16 v50, v33, 0x2fb7, -v50
	v_mul_f16_e32 v55, 0xb3a8, v53
	v_lshrrev_b32_e32 v56, 16, v25
	v_fmamk_f16 v54, v19, 0xbbf1, v52
	v_pk_mul_f16 v32, 0xbbf1, v41 op_sel_hi:[0,1]
	v_add_f16_e32 v43, v50, v43
	v_fmamk_f16 v50, v25, 0xbbc4, v55
	v_mul_f16_e32 v58, 0xbbc4, v56
	v_add_f16_e32 v51, v54, v51
	v_pk_fma_f16 v54, 0x2fb7, v25, v32 op_sel:[0,0,1] op_sel_hi:[0,1,0]
	v_pk_fma_f16 v32, 0x2fb7, v25, v32 op_sel:[0,0,1] op_sel_hi:[0,1,0] neg_lo:[0,0,1] neg_hi:[0,0,1]
	v_fmac_f16_e32 v52, 0x3bf1, v19
	v_add_f16_e32 v44, v50, v44
	v_fmamk_f16 v50, v41, 0x33a8, v58
	v_fma_f16 v55, v25, 0xbbc4, -v55
	v_mul_f16_e32 v59, 0xb5ac, v56
	v_bfi_b32 v57, 0xffff, v54, v32
	v_add_f16_e32 v22, v52, v22
	v_mul_f16_e32 v52, 0x3b7b, v53
	v_add_f16_e32 v45, v50, v45
	v_add_f16_e32 v37, v55, v37
	v_fmamk_f16 v50, v41, 0xbb7b, v59
	v_mul_f16_e32 v55, 0x3770, v53
	v_pk_add_f16 v34, v57, v34
	v_fmamk_f16 v57, v25, 0xb5ac, v52
	v_fma_f16 v52, v25, 0xb5ac, -v52
	v_add_f16_e32 v47, v50, v47
	v_fmamk_f16 v50, v25, 0x3b15, v55
	v_fmac_f16_e32 v58, 0xb3a8, v41
	v_add_f16_e32 v46, v57, v46
	v_add_f16_e32 v36, v52, v36
	v_fma_f16 v52, v25, 0x3b15, -v55
	v_add_f16_e32 v48, v50, v48
	v_mul_f16_e32 v50, 0xba95, v53
	v_mul_f16_e32 v57, 0x3b15, v56
	v_add_f16_e32 v38, v58, v38
	v_add_f16_e32 v40, v52, v40
	v_pk_add_f16 v52, v26, v31 neg_lo:[0,1] neg_hi:[0,1]
	v_fmamk_f16 v55, v25, 0x388b, v50
	v_fmamk_f16 v58, v41, 0xb770, v57
	v_fmac_f16_e32 v57, 0x3770, v41
	v_pk_add_f16 v26, v31, v26
	v_mul_f16_e32 v53, 0x388b, v56
	v_add_f16_e32 v21, v55, v21
	v_lshrrev_b32_e32 v55, 16, v52
	v_add_f16_e32 v49, v58, v49
	v_add_f16_e32 v42, v57, v42
	v_fma_f16 v50, v25, 0x388b, -v50
	v_lshrrev_b32_e32 v58, 16, v26
	v_mul_f16_e32 v57, 0x394e, v55
	v_fmamk_f16 v56, v41, 0x3a95, v53
	v_pk_mul_f16 v31, 0xbb7b, v52 op_sel_hi:[0,1]
	v_add_f16_e32 v43, v50, v43
	v_mul_f16_e32 v60, 0xb9fd, v58
	v_fmamk_f16 v50, v26, 0xb9fd, v57
	v_fmac_f16_e32 v59, 0x3b7b, v41
	v_add_f16_e32 v51, v56, v51
	v_pk_fma_f16 v56, 0xb5ac, v26, v31 op_sel:[0,0,1] op_sel_hi:[0,1,0]
	v_pk_fma_f16 v31, 0xb5ac, v26, v31 op_sel:[0,0,1] op_sel_hi:[0,1,0] neg_lo:[0,0,1] neg_hi:[0,0,1]
	v_fmac_f16_e32 v53, 0xba95, v41
	v_add_f16_e32 v44, v50, v44
	v_fmamk_f16 v50, v52, 0xb94e, v60
	v_fma_f16 v57, v26, 0xb9fd, -v57
	v_mul_f16_e32 v61, 0x3b15, v58
	v_add_f16_e32 v39, v59, v39
	v_bfi_b32 v59, 0xffff, v56, v31
	v_add_f16_e32 v22, v53, v22
	v_mul_f16_e32 v53, 0x3770, v55
	v_add_f16_e32 v45, v50, v45
	v_add_f16_e32 v37, v57, v37
	v_fmamk_f16 v50, v52, 0xb770, v61
	v_mul_f16_e32 v57, 0xbbf1, v55
	v_pk_add_f16 v34, v59, v34
	v_fmamk_f16 v59, v26, 0x3b15, v53
	v_fma_f16 v53, v26, 0x3b15, -v53
	v_add_f16_e32 v47, v50, v47
	v_fmamk_f16 v50, v26, 0x2fb7, v57
	v_fmac_f16_e32 v60, 0x394e, v52
	v_add_f16_e32 v46, v59, v46
	v_add_f16_e32 v36, v53, v36
	v_fma_f16 v53, v26, 0x2fb7, -v57
	v_add_f16_e32 v48, v50, v48
	v_mul_f16_e32 v50, 0x33a8, v55
	v_mul_f16_e32 v59, 0x2fb7, v58
	v_add_f16_e32 v38, v60, v38
	v_add_f16_e32 v40, v53, v40
	v_pk_add_f16 v53, v27, v30 neg_lo:[0,1] neg_hi:[0,1]
	v_fmamk_f16 v57, v26, 0xbbc4, v50
	v_fmamk_f16 v60, v52, 0x3bf1, v59
	v_mul_f16_e32 v55, 0xbbc4, v58
	v_fmac_f16_e32 v59, 0xbbf1, v52
	v_pk_add_f16 v27, v30, v27
	v_add_f16_e32 v21, v57, v21
	v_lshrrev_b32_e32 v57, 16, v53
	v_add_f16_e32 v49, v60, v49
	v_fmamk_f16 v58, v52, 0xb3a8, v55
	v_pk_mul_f16 v30, 0xb94e, v53 op_sel_hi:[0,1]
	v_add_f16_e32 v42, v59, v42
	v_fma_f16 v50, v26, 0xbbc4, -v50
	v_mul_f16_e32 v59, 0x3bf1, v57
	v_lshrrev_b32_e32 v60, 16, v27
	v_fmac_f16_e32 v61, 0x3770, v52
	v_add_f16_e32 v51, v58, v51
	v_pk_fma_f16 v58, 0xb9fd, v27, v30 op_sel:[0,0,1] op_sel_hi:[0,1,0]
	v_pk_fma_f16 v30, 0xb9fd, v27, v30 op_sel:[0,0,1] op_sel_hi:[0,1,0] neg_lo:[0,0,1] neg_hi:[0,0,1]
	v_fmac_f16_e32 v55, 0x33a8, v52
	v_add_f16_e32 v43, v50, v43
	v_fmamk_f16 v50, v27, 0x2fb7, v59
	v_mul_f16_e32 v62, 0x2fb7, v60
	v_add_f16_e32 v39, v61, v39
	v_bfi_b32 v61, 0xffff, v58, v30
	v_add_f16_e32 v22, v55, v22
	v_mul_f16_e32 v55, 0xba95, v57
	v_add_f16_e32 v44, v50, v44
	v_fmamk_f16 v50, v53, 0xbbf1, v62
	v_fma_f16 v59, v27, 0x2fb7, -v59
	v_mul_f16_e32 v63, 0x388b, v60
	v_pk_add_f16 v34, v61, v34
	v_fmamk_f16 v61, v27, 0x388b, v55
	v_add_f16_e32 v45, v50, v45
	v_add_f16_e32 v37, v59, v37
	v_fmamk_f16 v50, v53, 0x3a95, v63
	v_mul_f16_e32 v59, 0x33a8, v57
	v_fma_f16 v55, v27, 0x388b, -v55
	v_fmac_f16_e32 v62, 0x3bf1, v53
	v_add_f16_e32 v46, v61, v46
	v_add_f16_e32 v47, v50, v47
	v_fmamk_f16 v50, v27, 0xbbc4, v59
	v_add_f16_e32 v36, v55, v36
	v_fma_f16 v55, v27, 0xbbc4, -v59
	v_mul_f16_e32 v61, 0xbbc4, v60
	v_add_f16_e32 v38, v62, v38
	v_add_f16_e32 v48, v50, v48
	v_mul_f16_e32 v50, 0x3770, v57
	v_mul_f16_e32 v57, 0x3b15, v60
	v_add_f16_e32 v40, v55, v40
	v_pk_add_f16 v55, v28, v29 neg_lo:[0,1] neg_hi:[0,1]
	v_fmamk_f16 v62, v53, 0xb3a8, v61
	v_fmac_f16_e32 v61, 0x33a8, v53
	v_fmamk_f16 v59, v27, 0x3b15, v50
	v_fmamk_f16 v60, v53, 0xb770, v57
	v_pk_add_f16 v28, v29, v28
	v_pk_mul_f16 v29, 0xb3a8, v55 op_sel_hi:[0,1]
	v_fmac_f16_e32 v63, 0xba95, v53
	v_add_f16_e32 v42, v61, v42
	v_add_f16_e32 v21, v59, v21
	;; [unrolled: 1-line block ×3, first 2 shown]
	v_lshrrev_b32_e32 v59, 16, v55
	v_pk_fma_f16 v60, 0xbbc4, v28, v29 op_sel:[0,0,1] op_sel_hi:[0,1,0]
	v_pk_fma_f16 v29, 0xbbc4, v28, v29 op_sel:[0,0,1] op_sel_hi:[0,1,0] neg_lo:[0,0,1] neg_hi:[0,0,1]
	v_lshrrev_b32_e32 v61, 16, v28
	v_add_f16_e32 v39, v63, v39
	v_add_f16_e32 v49, v62, v49
	v_fma_f16 v50, v27, 0x3b15, -v50
	v_mul_f16_e32 v62, 0x3770, v59
	v_fmac_f16_e32 v57, 0x3770, v53
	v_bfi_b32 v63, 0xffff, v60, v29
	v_mul_f16_e32 v64, 0x3b15, v61
	v_add_f16_e32 v43, v50, v43
	v_fmamk_f16 v50, v28, 0x3b15, v62
	v_add_f16_e32 v22, v57, v22
	v_pk_add_f16 v34, v63, v34
	v_fmamk_f16 v57, v55, 0xb770, v64
	v_mul_f16_e32 v63, 0xb94e, v59
	v_add_f16_e32 v44, v50, v44
	v_fma_f16 v50, v28, 0x3b15, -v62
	v_mul_f16_e32 v62, 0xb9fd, v61
	v_add_f16_e32 v45, v57, v45
	v_fmamk_f16 v57, v28, 0xb9fd, v63
	v_fmac_f16_e32 v64, 0x3770, v55
	v_add_f16_e32 v37, v50, v37
	v_mul_f16_e32 v50, 0x3a95, v59
	v_mul_f16_e32 v65, 0x388b, v61
	v_add_f16_e32 v46, v57, v46
	v_fmamk_f16 v57, v55, 0x394e, v62
	v_add_f16_e32 v38, v64, v38
	v_fmamk_f16 v64, v28, 0x388b, v50
	v_fma_f16 v50, v28, 0x388b, -v50
	v_mul_f16_e32 v59, 0xbb7b, v59
	v_add_f16_e32 v47, v57, v47
	v_fmamk_f16 v57, v55, 0xba95, v65
	v_mul_f16_e32 v61, 0xb5ac, v61
	v_add_f16_e32 v40, v50, v40
	v_fmamk_f16 v50, v28, 0xb5ac, v59
	v_pk_mul_f16 v18, 0xbbc4, v18 op_sel_hi:[0,1]
	v_add_f16_e32 v49, v57, v49
	v_fmamk_f16 v57, v55, 0x3b7b, v61
	v_pk_mul_f16 v33, 0x3b15, v33 op_sel_hi:[0,1]
	v_add_f16_e32 v21, v50, v21
	v_fma_f16 v59, v28, 0xb5ac, -v59
	v_pk_mul_f16 v25, 0xb9fd, v25 op_sel_hi:[0,1]
	v_add_f16_e32 v50, v57, v51
	v_pk_fma_f16 v51, 0xb3a8, v17, v18 op_sel:[0,0,1] op_sel_hi:[0,1,0]
	v_pk_fma_f16 v17, 0xb3a8, v17, v18 op_sel:[0,0,1] op_sel_hi:[0,1,0] neg_lo:[0,1,0] neg_hi:[0,1,0]
	v_pk_fma_f16 v18, 0x3770, v19, v33 op_sel:[0,0,1] op_sel_hi:[0,1,0]
	v_add_f16_e32 v43, v59, v43
	v_pack_b32_f16 v46, v46, v47
	v_alignbit_b32 v57, s0, v51, 16
	v_pk_add_f16 v17, v7, v17 op_sel:[1,0] op_sel_hi:[0,1]
	v_alignbit_b32 v59, s0, v18, 16
	v_pk_fma_f16 v19, 0x3770, v19, v33 op_sel:[0,0,1] op_sel_hi:[0,1,0] neg_lo:[0,1,0] neg_hi:[0,1,0]
	v_pk_fma_f16 v33, 0xb94e, v41, v25 op_sel:[0,0,1] op_sel_hi:[0,1,0]
	v_pk_add_f16 v47, v7, v57
	v_alignbit_b32 v57, s0, v7, 16
	v_pk_mul_f16 v26, 0x388b, v26 op_sel_hi:[0,1]
	v_pk_add_f16 v17, v19, v17
	v_alignbit_b32 v19, s0, v33, 16
	v_pk_add_f16 v47, v59, v47
	v_pk_add_f16 v51, v57, v51
	v_pk_fma_f16 v25, 0xb94e, v41, v25 op_sel:[0,0,1] op_sel_hi:[0,1,0] neg_lo:[0,1,0] neg_hi:[0,1,0]
	v_pk_fma_f16 v41, 0x3a95, v52, v26 op_sel:[0,0,1] op_sel_hi:[0,1,0]
	v_pk_mul_f16 v27, 0xb5ac, v27 op_sel_hi:[0,1]
	v_bfi_b32 v14, 0xffff, v15, v14
	v_pk_add_f16 v18, v18, v51
	v_pk_add_f16 v19, v19, v47
	;; [unrolled: 1-line block ×3, first 2 shown]
	v_alignbit_b32 v25, s0, v41, 16
	v_pk_fma_f16 v47, 0xbb7b, v53, v27 op_sel:[0,0,1] op_sel_hi:[0,1,0]
	v_pk_add_f16 v7, v7, v14
	v_bfi_b32 v14, 0xffff, v35, v20
	v_pk_fma_f16 v26, 0x3a95, v52, v26 op_sel:[0,0,1] op_sel_hi:[0,1,0] neg_lo:[0,1,0] neg_hi:[0,1,0]
	v_pk_add_f16 v18, v33, v18
	v_pk_add_f16 v15, v25, v19
	v_alignbit_b32 v19, s0, v47, 16
	v_pk_mul_f16 v25, 0x2fb7, v28 op_sel_hi:[0,1]
	v_pk_add_f16 v7, v14, v7
	v_bfi_b32 v14, 0xffff, v32, v54
	v_pk_add_f16 v17, v26, v17
	v_pk_add_f16 v18, v41, v18
	v_pk_fma_f16 v20, 0xbb7b, v53, v27 op_sel:[0,0,1] op_sel_hi:[0,1,0] neg_lo:[0,1,0] neg_hi:[0,1,0]
	v_pk_add_f16 v15, v19, v15
	v_pk_fma_f16 v19, 0x3bf1, v55, v25 op_sel:[0,0,1] op_sel_hi:[0,1,0]
	v_pk_add_f16 v7, v14, v7
	v_bfi_b32 v14, 0xffff, v31, v56
	v_pk_add_f16 v17, v20, v17
	v_pk_add_f16 v18, v47, v18
	v_alignbit_b32 v20, s0, v19, 16
	v_pk_fma_f16 v25, 0x3bf1, v55, v25 op_sel:[0,0,1] op_sel_hi:[0,1,0] neg_lo:[0,1,0] neg_hi:[0,1,0]
	v_fmac_f16_e32 v65, 0x3a95, v55
	v_fmac_f16_e32 v61, 0xbb7b, v55
	v_fma_f16 v63, v28, 0xb9fd, -v63
	v_fmac_f16_e32 v62, 0xb94e, v55
	v_pk_add_f16 v7, v14, v7
	v_bfi_b32 v14, 0xffff, v30, v58
	v_add_f16_e32 v48, v64, v48
	v_pk_add_f16 v15, v20, v15
	v_pk_add_f16 v17, v25, v17
	;; [unrolled: 1-line block ×3, first 2 shown]
	v_add_f16_e32 v42, v65, v42
	v_add_f16_e32 v22, v61, v22
	v_add_f16_e32 v36, v63, v36
	v_add_f16_e32 v39, v62, v39
	v_pk_add_f16 v7, v14, v7
	v_bfi_b32 v14, 0xffff, v29, v60
	v_pack_b32_f16 v26, v44, v45
	v_pack_b32_f16 v19, v21, v50
	;; [unrolled: 1-line block ×3, first 2 shown]
	v_alignbit_b32 v18, v18, v17, 16
	v_pack_b32_f16 v15, v15, v17
	v_pack_b32_f16 v17, v40, v42
	;; [unrolled: 1-line block ×5, first 2 shown]
	v_pk_add_f16 v7, v14, v7
	ds_store_2addr_b32 v13, v16, v34 offset1:1
	ds_store_2addr_b32 v13, v26, v46 offset0:2 offset1:3
	ds_store_2addr_b32 v13, v20, v19 offset0:4 offset1:5
	;; [unrolled: 1-line block ×5, first 2 shown]
	ds_store_b32 v13, v7 offset:48
	global_wb scope:SCOPE_SE
	s_wait_dscnt 0x0
	s_barrier_signal -1
	s_barrier_wait -1
	global_inv scope:SCOPE_SE
	ds_load_2addr_b32 v[13:14], v4 offset0:78 offset1:169
	ds_load_2addr_b32 v[21:22], v8 offset0:119 offset1:210
	;; [unrolled: 1-line block ×5, first 2 shown]
	ds_load_b32 v31, v23
	ds_load_b32 v32, v4 offset:3692
	v_cmp_gt_u32_e64 s0, 13, v3
	v_lshrrev_b32_e32 v25, 16, v7
                                        ; implicit-def: $vgpr26
                                        ; implicit-def: $vgpr10
                                        ; implicit-def: $vgpr29
                                        ; implicit-def: $vgpr28
                                        ; implicit-def: $vgpr12
                                        ; implicit-def: $vgpr30
                                        ; implicit-def: $vgpr27
	s_delay_alu instid0(VALU_DEP_2)
	s_and_saveexec_b32 s1, s0
	s_cbranch_execz .LBB0_23
; %bb.22:
	v_add_nc_u32_e32 v11, 0x700, v4
	ds_load_2addr_b32 v[7:8], v8 offset0:28 offset1:197
	ds_load_2addr_b32 v[9:10], v9 offset0:64 offset1:233
	;; [unrolled: 1-line block ×3, first 2 shown]
	s_wait_dscnt 0x2
	v_lshrrev_b32_e32 v25, 16, v7
	v_lshrrev_b32_e32 v27, 16, v8
	s_wait_dscnt 0x1
	v_lshrrev_b32_e32 v29, 16, v9
	s_wait_dscnt 0x0
	v_lshrrev_b32_e32 v30, 16, v11
	v_lshrrev_b32_e32 v28, 16, v12
	;; [unrolled: 1-line block ×3, first 2 shown]
.LBB0_23:
	s_wait_alu 0xfffe
	s_or_b32 exec_lo, exec_lo, s1
	v_and_b32_e32 v33, 0xff, v3
	v_add_nc_u16 v34, v3, 0x4e
	s_wait_dscnt 0x6
	v_lshrrev_b32_e32 v51, 16, v14
	s_wait_dscnt 0x5
	v_lshrrev_b32_e32 v52, 16, v22
	;; [unrolled: 2-line block ×3, first 2 shown]
	v_mul_lo_u16 v33, 0x4f, v33
	s_wait_dscnt 0x3
	v_lshrrev_b32_e32 v54, 16, v18
	s_wait_dscnt 0x2
	v_lshrrev_b32_e32 v55, 16, v16
	v_lshrrev_b32_e32 v49, 16, v15
	s_wait_dscnt 0x0
	v_lshrrev_b32_e32 v50, 16, v32
	v_lshrrev_b16 v41, 10, v33
	v_and_b32_e32 v33, 0xff, v34
	v_lshrrev_b32_e32 v56, 16, v21
	v_lshrrev_b32_e32 v57, 16, v19
	;; [unrolled: 1-line block ×3, first 2 shown]
	v_mul_lo_u16 v35, v41, 13
	v_mul_lo_u16 v33, 0x4f, v33
	v_and_b32_e32 v41, 0xffff, v41
	v_lshrrev_b32_e32 v47, 16, v31
	v_lshrrev_b32_e32 v48, 16, v13
	v_sub_nc_u16 v35, v3, v35
	v_lshrrev_b16 v42, 10, v33
	v_mad_u32_u24 v41, 0x138, v41, 0
	s_delay_alu instid0(VALU_DEP_3) | instskip(NEXT) | instid1(VALU_DEP_3)
	v_and_b32_e32 v43, 0xff, v35
	v_mul_lo_u16 v33, v42, 13
	v_and_b32_e32 v42, 0xffff, v42
	s_delay_alu instid0(VALU_DEP_3) | instskip(NEXT) | instid1(VALU_DEP_3)
	v_mul_u32_u24_e32 v35, 5, v43
	v_sub_nc_u16 v33, v34, v33
	s_delay_alu instid0(VALU_DEP_3) | instskip(SKIP_1) | instid1(VALU_DEP_4)
	v_mad_u32_u24 v42, 0x138, v42, 0
	v_lshlrev_b32_e32 v43, 2, v43
	v_lshlrev_b32_e32 v37, 2, v35
	s_delay_alu instid0(VALU_DEP_4)
	v_and_b32_e32 v44, 0xff, v33
	s_clause 0x1
	global_load_b128 v[33:36], v37, s[8:9]
	global_load_b32 v45, v37, s[8:9] offset:16
	v_mul_u32_u24_e32 v37, 5, v44
	v_lshlrev_b32_e32 v44, 2, v44
	v_add3_u32 v41, v41, v43, v24
	s_delay_alu instid0(VALU_DEP_3) | instskip(NEXT) | instid1(VALU_DEP_3)
	v_lshlrev_b32_e32 v46, 2, v37
	v_add3_u32 v42, v42, v44, v24
	s_clause 0x1
	global_load_b128 v[37:40], v46, s[8:9]
	global_load_b32 v46, v46, s[8:9] offset:16
	global_wb scope:SCOPE_SE
	s_wait_loadcnt 0x0
	s_barrier_signal -1
	s_barrier_wait -1
	global_inv scope:SCOPE_SE
	v_lshrrev_b32_e32 v43, 16, v33
	v_lshrrev_b32_e32 v44, 16, v34
	;; [unrolled: 1-line block ×5, first 2 shown]
	v_mul_f16_e32 v62, v43, v51
	v_mul_f16_e32 v43, v43, v14
	;; [unrolled: 1-line block ×10, first 2 shown]
	v_lshrrev_b32_e32 v67, 16, v37
	v_lshrrev_b32_e32 v68, 16, v38
	;; [unrolled: 1-line block ×5, first 2 shown]
	v_fmac_f16_e32 v62, v33, v14
	v_fma_f16 v14, v33, v51, -v43
	v_fmac_f16_e32 v63, v34, v22
	v_fma_f16 v22, v34, v52, -v44
	;; [unrolled: 2-line block ×5, first 2 shown]
	v_mul_f16_e32 v33, v67, v56
	v_mul_f16_e32 v34, v67, v21
	;; [unrolled: 1-line block ×10, first 2 shown]
	v_fmac_f16_e32 v33, v37, v21
	v_fma_f16 v21, v37, v56, -v34
	v_fmac_f16_e32 v35, v38, v19
	v_fma_f16 v19, v38, v57, -v36
	;; [unrolled: 2-line block ×5, first 2 shown]
	v_add_f16_e32 v36, v63, v65
	v_sub_f16_e32 v37, v22, v18
	v_add_f16_e32 v38, v47, v22
	v_add_f16_e32 v22, v22, v18
	;; [unrolled: 1-line block ×3, first 2 shown]
	v_sub_f16_e32 v46, v20, v16
	v_add_f16_e32 v49, v14, v20
	v_add_f16_e32 v20, v20, v16
	;; [unrolled: 1-line block ×3, first 2 shown]
	v_sub_f16_e32 v39, v63, v65
	v_add_f16_e32 v40, v62, v64
	v_sub_f16_e32 v50, v64, v66
	v_fmac_f16_e32 v31, -0.5, v36
	v_fmac_f16_e32 v47, -0.5, v22
	;; [unrolled: 1-line block ×4, first 2 shown]
	v_sub_f16_e32 v51, v17, v32
	v_add_f16_e32 v53, v21, v17
	v_add_f16_e32 v17, v17, v32
	;; [unrolled: 1-line block ×8, first 2 shown]
	v_sub_f16_e32 v38, v19, v15
	v_add_f16_e32 v40, v48, v19
	v_add_f16_e32 v19, v19, v15
	;; [unrolled: 1-line block ×4, first 2 shown]
	v_sub_f16_e32 v43, v43, v52
	v_fmamk_f16 v54, v37, 0xbaee, v31
	v_fmac_f16_e32 v31, 0x3aee, v37
	v_fmamk_f16 v37, v39, 0x3aee, v47
	v_fmac_f16_e32 v47, 0xbaee, v39
	;; [unrolled: 2-line block ×3, first 2 shown]
	v_fmamk_f16 v46, v50, 0x3aee, v14
	v_fmac_f16_e32 v21, -0.5, v17
	v_fmac_f16_e32 v14, 0xbaee, v50
	v_sub_f16_e32 v35, v35, v45
	v_add_f16_e32 v50, v34, v22
	v_add_f16_e32 v55, v18, v16
	v_sub_f16_e32 v22, v34, v22
	v_sub_f16_e32 v16, v18, v16
	v_add_f16_e32 v18, v20, v45
	v_fmac_f16_e32 v13, -0.5, v36
	v_add_f16_e32 v15, v40, v15
	v_fmac_f16_e32 v48, -0.5, v19
	;; [unrolled: 2-line block ×3, first 2 shown]
	v_add_f16_e32 v20, v53, v32
	v_mul_f16_e32 v17, 0xbaee, v46
	v_mul_f16_e32 v34, 0.5, v46
	v_fmamk_f16 v40, v43, 0x3aee, v21
	v_fmac_f16_e32 v21, 0xbaee, v43
	v_mul_f16_e32 v32, 0xbaee, v14
	v_mul_f16_e32 v14, -0.5, v14
	v_fmamk_f16 v36, v38, 0xbaee, v13
	v_fmac_f16_e32 v13, 0x3aee, v38
	v_fmamk_f16 v38, v35, 0x3aee, v48
	v_fmac_f16_e32 v48, 0xbaee, v35
	v_fmamk_f16 v35, v51, 0xbaee, v33
	v_add_f16_e32 v43, v18, v19
	v_add_f16_e32 v44, v15, v20
	v_sub_f16_e32 v18, v18, v19
	v_sub_f16_e32 v15, v15, v20
	v_fmac_f16_e32 v17, 0.5, v39
	v_fmac_f16_e32 v34, 0x3aee, v39
	v_mul_f16_e32 v20, 0xbaee, v40
	v_mul_f16_e32 v39, 0.5, v40
	v_fmac_f16_e32 v33, 0x3aee, v51
	v_pack_b32_f16 v16, v22, v16
	v_mul_f16_e32 v22, 0xbaee, v21
	v_mul_f16_e32 v21, -0.5, v21
	v_fmac_f16_e32 v32, -0.5, v62
	v_fmac_f16_e32 v14, 0x3aee, v62
	v_pack_b32_f16 v40, v43, v44
	v_pack_b32_f16 v15, v18, v15
	v_add_f16_e32 v18, v54, v17
	v_add_f16_e32 v44, v37, v34
	v_fmac_f16_e32 v20, 0.5, v35
	v_fmac_f16_e32 v39, 0x3aee, v35
	v_fmac_f16_e32 v22, -0.5, v33
	v_fmac_f16_e32 v21, 0x3aee, v33
	v_add_f16_e32 v43, v31, v32
	v_add_f16_e32 v45, v47, v14
	v_sub_f16_e32 v17, v54, v17
	v_sub_f16_e32 v31, v31, v32
	;; [unrolled: 1-line block ×4, first 2 shown]
	v_pack_b32_f16 v19, v50, v55
	v_add_f16_e32 v33, v36, v20
	v_add_f16_e32 v35, v38, v39
	v_pack_b32_f16 v18, v18, v44
	v_add_f16_e32 v34, v13, v22
	v_add_f16_e32 v37, v48, v21
	v_sub_f16_e32 v20, v36, v20
	v_sub_f16_e32 v13, v13, v22
	;; [unrolled: 1-line block ×4, first 2 shown]
	v_pack_b32_f16 v36, v43, v45
	v_pack_b32_f16 v17, v17, v32
	;; [unrolled: 1-line block ×3, first 2 shown]
	ds_store_2addr_b32 v41, v19, v18 offset1:13
	v_pack_b32_f16 v18, v33, v35
	v_pack_b32_f16 v19, v34, v37
	;; [unrolled: 1-line block ×4, first 2 shown]
	ds_store_2addr_b32 v41, v36, v16 offset0:26 offset1:39
	ds_store_2addr_b32 v41, v17, v14 offset0:52 offset1:65
	ds_store_2addr_b32 v42, v40, v18 offset1:13
	ds_store_2addr_b32 v42, v19, v15 offset0:26 offset1:39
	ds_store_2addr_b32 v42, v20, v13 offset0:52 offset1:65
	s_and_saveexec_b32 s1, s0
	s_cbranch_execz .LBB0_25
; %bb.24:
	v_add_nc_u16 v13, v3, 0x9c
	s_delay_alu instid0(VALU_DEP_1) | instskip(NEXT) | instid1(VALU_DEP_1)
	v_and_b32_e32 v14, 0xff, v13
	v_mul_lo_u16 v14, 0x4f, v14
	s_delay_alu instid0(VALU_DEP_1) | instskip(NEXT) | instid1(VALU_DEP_1)
	v_lshrrev_b16 v14, 10, v14
	v_mul_lo_u16 v14, v14, 13
	s_delay_alu instid0(VALU_DEP_1) | instskip(NEXT) | instid1(VALU_DEP_1)
	v_sub_nc_u16 v13, v13, v14
	v_and_b32_e32 v17, 0xff, v13
	s_delay_alu instid0(VALU_DEP_1) | instskip(SKIP_1) | instid1(VALU_DEP_2)
	v_mul_u32_u24_e32 v13, 5, v17
	v_lshlrev_b32_e32 v17, 2, v17
	v_lshlrev_b32_e32 v18, 2, v13
	s_delay_alu instid0(VALU_DEP_2)
	v_add3_u32 v17, 0, v17, v24
	s_clause 0x1
	global_load_b128 v[13:16], v18, s[8:9]
	global_load_b32 v18, v18, s[8:9] offset:16
	v_add_nc_u32_e32 v17, 0xc00, v17
	s_wait_loadcnt 0x1
	v_lshrrev_b32_e32 v20, 16, v16
	v_lshrrev_b32_e32 v21, 16, v13
	;; [unrolled: 1-line block ×3, first 2 shown]
	s_wait_loadcnt 0x0
	v_lshrrev_b32_e32 v24, 16, v18
	v_lshrrev_b32_e32 v19, 16, v14
	v_mul_f16_e32 v32, v9, v20
	v_mul_f16_e32 v20, v29, v20
	;; [unrolled: 1-line block ×10, first 2 shown]
	v_fmac_f16_e32 v20, v9, v16
	v_fmac_f16_e32 v33, v8, v13
	v_fma_f16 v8, v28, v15, -v22
	v_fma_f16 v9, v26, v18, -v24
	;; [unrolled: 1-line block ×4, first 2 shown]
	v_fmac_f16_e32 v19, v11, v14
	v_fmac_f16_e32 v34, v12, v15
	;; [unrolled: 1-line block ×3, first 2 shown]
	v_fma_f16 v10, v27, v13, -v21
	v_add_f16_e32 v15, v8, v9
	v_add_f16_e32 v11, v30, v29
	v_sub_f16_e32 v14, v8, v9
	v_add_f16_e32 v13, v34, v35
	v_sub_f16_e32 v16, v34, v35
	v_add_f16_e32 v18, v25, v30
	v_add_f16_e32 v8, v10, v8
	;; [unrolled: 1-line block ×3, first 2 shown]
	v_fma_f16 v10, -0.5, v15, v10
	v_sub_f16_e32 v12, v19, v20
	v_add_f16_e32 v19, v7, v19
	v_add_f16_e32 v24, v33, v34
	v_sub_f16_e32 v22, v30, v29
	v_fma_f16 v11, -0.5, v11, v25
	v_fma_f16 v13, -0.5, v13, v33
	v_add_f16_e32 v15, v18, v29
	v_add_f16_e32 v8, v8, v9
	v_fma_f16 v7, -0.5, v21, v7
	v_fmamk_f16 v21, v16, 0xbaee, v10
	v_fmac_f16_e32 v10, 0x3aee, v16
	v_add_f16_e32 v9, v19, v20
	v_add_f16_e32 v18, v24, v35
	v_fmamk_f16 v19, v12, 0xbaee, v11
	v_fmamk_f16 v20, v14, 0x3aee, v13
	v_fmac_f16_e32 v11, 0x3aee, v12
	v_fmac_f16_e32 v13, 0xbaee, v14
	v_sub_f16_e32 v12, v15, v8
	v_fmamk_f16 v14, v22, 0x3aee, v7
	v_fmac_f16_e32 v7, 0xbaee, v22
	v_add_f16_e32 v8, v15, v8
	v_mul_f16_e32 v15, -0.5, v21
	v_mul_f16_e32 v22, 0.5, v10
	v_mul_f16_e32 v10, 0xbaee, v10
	v_sub_f16_e32 v16, v9, v18
	v_add_f16_e32 v9, v9, v18
	v_mul_f16_e32 v18, 0xbaee, v21
	v_fmac_f16_e32 v15, 0x3aee, v20
	v_fmac_f16_e32 v22, 0x3aee, v13
	v_fmac_f16_e32 v10, 0.5, v13
	v_pack_b32_f16 v8, v9, v8
	v_fmac_f16_e32 v18, -0.5, v20
	v_sub_f16_e32 v9, v19, v15
	v_sub_f16_e32 v13, v11, v22
	v_add_f16_e32 v15, v19, v15
	v_add_f16_e32 v11, v11, v22
	;; [unrolled: 1-line block ×4, first 2 shown]
	v_sub_f16_e32 v7, v7, v10
	v_sub_f16_e32 v10, v14, v18
	v_pack_b32_f16 v12, v16, v12
	v_pack_b32_f16 v11, v19, v11
	;; [unrolled: 1-line block ×5, first 2 shown]
	ds_store_2addr_b32 v17, v8, v11 offset0:168 offset1:181
	ds_store_2addr_b32 v17, v14, v12 offset0:194 offset1:207
	ds_store_2addr_b32 v17, v7, v9 offset0:220 offset1:233
.LBB0_25:
	s_wait_alu 0xfffe
	s_or_b32 exec_lo, exec_lo, s1
	v_mul_u32_u24_e32 v7, 12, v3
	global_wb scope:SCOPE_SE
	s_wait_dscnt 0x0
	s_barrier_signal -1
	s_barrier_wait -1
	global_inv scope:SCOPE_SE
	v_lshlrev_b32_e32 v7, 2, v7
	v_add_nc_u32_e32 v8, 0x800, v4
	v_add_nc_u32_e32 v10, 0xa00, v4
	;; [unrolled: 1-line block ×4, first 2 shown]
	s_clause 0x2
	global_load_b128 v[36:39], v7, s[8:9] offset:260
	global_load_b128 v[40:43], v7, s[8:9] offset:276
	;; [unrolled: 1-line block ×3, first 2 shown]
	v_add_nc_u32_e32 v7, 0x400, v4
	ds_load_2addr_b32 v[12:13], v4 offset0:78 offset1:156
	ds_load_b32 v20, v23
	ds_load_2addr_b32 v[23:24], v8 offset0:34 offset1:112
	ds_load_2addr_b32 v[21:22], v7 offset0:134 offset1:212
	;; [unrolled: 1-line block ×5, first 2 shown]
	global_wb scope:SCOPE_SE
	s_wait_loadcnt_dscnt 0x0
	s_barrier_signal -1
	s_barrier_wait -1
	global_inv scope:SCOPE_SE
	v_lshrrev_b32_e32 v19, 16, v12
	v_lshrrev_b32_e32 v27, 16, v13
	;; [unrolled: 1-line block ×20, first 2 shown]
	v_mul_f16_e32 v64, v10, v19
	v_mul_f16_e32 v65, v10, v12
	v_lshrrev_b32_e32 v17, 16, v41
	v_lshrrev_b32_e32 v18, 16, v42
	;; [unrolled: 1-line block ×5, first 2 shown]
	v_mul_f16_e32 v34, v11, v27
	v_mul_f16_e32 v66, v11, v13
	;; [unrolled: 1-line block ×11, first 2 shown]
	v_fmac_f16_e32 v64, v36, v12
	v_fma_f16 v36, v36, v19, -v65
	v_mul_f16_e32 v69, v21, v16
	v_mul_f16_e32 v10, v52, v17
	;; [unrolled: 1-line block ×11, first 2 shown]
	v_fmac_f16_e32 v34, v37, v13
	v_fma_f16 v37, v37, v27, -v66
	v_fmac_f16_e32 v30, v38, v50
	v_fma_f16 v31, v38, v29, -v67
	;; [unrolled: 2-line block ×3, first 2 shown]
	v_fmac_f16_e32 v26, v21, v40
	v_fmac_f16_e32 v15, v48, v46
	v_fma_f16 v19, v58, v47, -v63
	v_fma_f16 v21, v57, v46, -v62
	v_add_f16_e32 v38, v64, v20
	v_add_f16_e32 v39, v36, v25
	v_fma_f16 v27, v35, v40, -v69
	v_fmac_f16_e32 v10, v22, v41
	v_fma_f16 v12, v52, v41, -v70
	v_fmac_f16_e32 v11, v23, v42
	;; [unrolled: 2-line block ×4, first 2 shown]
	v_fma_f16 v22, v56, v45, -v61
	v_add_f16_e32 v41, v36, v19
	v_sub_f16_e32 v42, v36, v19
	v_add_f16_e32 v35, v34, v15
	v_add_f16_e32 v44, v37, v21
	v_sub_f16_e32 v36, v34, v15
	v_sub_f16_e32 v45, v37, v21
	v_add_f16_e32 v34, v38, v34
	v_add_f16_e32 v37, v39, v37
	v_fmac_f16_e32 v18, v24, v43
	v_fma_f16 v24, v54, v43, -v72
	v_fmac_f16_e32 v14, v49, v47
	v_add_f16_e32 v43, v30, v16
	v_add_f16_e32 v46, v31, v22
	v_sub_f16_e32 v40, v30, v16
	v_sub_f16_e32 v47, v31, v22
	v_add_f16_e32 v30, v34, v30
	v_add_f16_e32 v31, v37, v31
	v_sub_f16_e32 v48, v29, v23
	v_add_f16_e32 v49, v28, v17
	v_add_f16_e32 v50, v29, v23
	;; [unrolled: 3-line block ×3, first 2 shown]
	v_add_f16_e32 v52, v26, v18
	v_sub_f16_e32 v53, v27, v24
	v_add_f16_e32 v54, v27, v24
	v_sub_f16_e32 v55, v26, v18
	v_add_f16_e32 v27, v29, v27
	v_add_f16_e32 v26, v28, v26
	;; [unrolled: 1-line block ×3, first 2 shown]
	v_sub_f16_e32 v33, v64, v14
	v_mul_f16_e32 v38, 0xb770, v42
	v_mul_f16_e32 v39, 0x3b15, v41
	;; [unrolled: 1-line block ×8, first 2 shown]
	v_add_f16_e32 v26, v26, v10
	v_add_f16_e32 v27, v27, v12
	v_mul_f16_e32 v59, 0x2fb7, v41
	v_mul_f16_e32 v61, 0xb5ac, v41
	v_mul_f16_e32 v63, 0xb9fd, v41
	v_mul_f16_e32 v41, 0xbbc4, v41
	v_mul_f16_e32 v64, 0xba95, v45
	v_mul_f16_e32 v65, 0x388b, v44
	v_mul_f16_e32 v67, 0xb5ac, v44
	v_fmamk_f16 v34, v32, 0x3b15, v38
	v_fmamk_f16 v37, v33, 0x3770, v39
	v_fma_f16 v38, v32, 0x3b15, -v38
	v_fmac_f16_e32 v39, 0xb770, v33
	v_fmamk_f16 v100, v32, 0x388b, v56
	v_fmamk_f16 v101, v33, 0x3a95, v57
	v_fma_f16 v56, v32, 0x388b, -v56
	v_fmamk_f16 v102, v32, 0x2fb7, v58
	v_fma_f16 v58, v32, 0x2fb7, -v58
	;; [unrolled: 2-line block ×5, first 2 shown]
	v_add_f16_e32 v26, v26, v11
	v_add_f16_e32 v27, v27, v13
	v_mul_f16_e32 v66, 0xbb7b, v45
	v_mul_f16_e32 v68, 0xb3a8, v45
	;; [unrolled: 1-line block ×17, first 2 shown]
	v_fmac_f16_e32 v57, 0xba95, v33
	v_fmamk_f16 v103, v33, 0x3bf1, v59
	v_fmac_f16_e32 v59, 0xbbf1, v33
	v_fmamk_f16 v105, v33, 0x3b7b, v61
	;; [unrolled: 2-line block ×5, first 2 shown]
	v_fmamk_f16 v42, v36, 0x3a95, v65
	v_fma_f16 v64, v35, 0x388b, -v64
	v_fmac_f16_e32 v65, 0xba95, v36
	v_fmamk_f16 v111, v36, 0x3b7b, v67
	v_add_f16_e32 v30, v34, v20
	v_add_f16_e32 v31, v38, v20
	;; [unrolled: 1-line block ×17, first 2 shown]
	v_mul_f16_e32 v81, 0xb5ac, v46
	v_mul_f16_e32 v82, 0x3b15, v46
	v_mul_f16_e32 v83, 0x388b, v46
	v_mul_f16_e32 v46, 0xb9fd, v46
	v_mul_f16_e32 v84, 0xbb7b, v48
	v_mul_f16_e32 v90, 0xb9fd, v50
	v_fmamk_f16 v110, v35, 0xb5ac, v66
	v_fma_f16 v66, v35, 0xb5ac, -v66
	v_fmac_f16_e32 v67, 0xbb7b, v36
	v_fmamk_f16 v112, v35, 0xbbc4, v68
	v_fmamk_f16 v113, v36, 0x33a8, v69
	v_fma_f16 v68, v35, 0xbbc4, -v68
	v_fmac_f16_e32 v69, 0xb3a8, v36
	v_fmamk_f16 v114, v35, 0xb9fd, v70
	;; [unrolled: 4-line block ×5, first 2 shown]
	v_fma_f16 v45, v43, 0x2fb7, -v74
	v_fmamk_f16 v74, v43, 0xbbc4, v76
	v_fma_f16 v76, v43, 0xbbc4, -v76
	v_fmamk_f16 v120, v43, 0xb5ac, v77
	;; [unrolled: 2-line block ×6, first 2 shown]
	v_fmac_f16_e32 v75, 0xbbf1, v40
	v_fmamk_f16 v124, v40, 0x33a8, v80
	v_add_f16_e32 v57, v57, v25
	v_add_f16_e32 v101, v103, v25
	;; [unrolled: 1-line block ×8, first 2 shown]
	v_mul_f16_e32 v85, 0x394e, v48
	v_mul_f16_e32 v86, 0x3770, v48
	;; [unrolled: 1-line block ×12, first 2 shown]
	v_fmac_f16_e32 v80, 0xb3a8, v40
	v_fmamk_f16 v125, v40, 0xbb7b, v81
	v_fmac_f16_e32 v81, 0x3b7b, v40
	v_fmamk_f16 v126, v40, 0xb770, v82
	;; [unrolled: 2-line block ×3, first 2 shown]
	v_fmac_f16_e32 v83, 0xba95, v40
	v_fma_f16 v128, 0x394e, v40, v46
	v_fmac_f16_e32 v46, 0xb94e, v40
	v_fmamk_f16 v40, v49, 0xb5ac, v84
	v_fma_f16 v84, v49, 0xb5ac, -v84
	v_fma_f16 v134, 0xb94e, v51, v90
	v_add_f16_e32 v59, v59, v25
	v_add_f16_e32 v103, v105, v25
	;; [unrolled: 1-line block ×18, first 2 shown]
	v_mul_f16_e32 v95, 0xb9fd, v54
	v_mul_f16_e32 v96, 0x3bf1, v53
	;; [unrolled: 1-line block ×4, first 2 shown]
	v_fma_f16 v129, 0xb9fd, v49, v85
	v_fma_f16 v85, v49, 0xb9fd, -v85
	v_fma_f16 v130, 0x3b15, v49, v86
	v_fma_f16 v86, v49, 0x3b15, -v86
	;; [unrolled: 2-line block ×5, first 2 shown]
	v_fmamk_f16 v49, v51, 0x3b7b, v89
	v_fmac_f16_e32 v89, 0xbb7b, v51
	v_fmac_f16_e32 v90, 0x394e, v51
	v_fma_f16 v135, 0xb770, v51, v91
	v_fmac_f16_e32 v91, 0x3770, v51
	v_fma_f16 v136, 0x3bf1, v51, v92
	;; [unrolled: 2-line block ×4, first 2 shown]
	v_fmac_f16_e32 v50, 0x3a95, v51
	v_fmamk_f16 v51, v52, 0xb9fd, v94
	v_fma_f16 v94, v52, 0xb9fd, -v94
	v_fma_f16 v141, 0xbbf1, v55, v97
	v_add_f16_e32 v38, v66, v38
	v_add_f16_e32 v56, v68, v58
	;; [unrolled: 1-line block ×13, first 2 shown]
	v_add_f16_e64 v33, v134, v33
	v_add_f16_e32 v15, v16, v15
	v_add_f16_e32 v16, v17, v21
	v_fma_f16 v139, 0x394e, v55, v95
	v_fmac_f16_e32 v95, 0xb94e, v55
	v_fma_f16 v140, 0x2fb7, v52, v96
	v_fmac_f16_e32 v97, 0x3bf1, v55
	v_fma_f16 v142, 0x388b, v52, v98
	v_add_f16_e32 v59, v115, v103
	v_add_f16_e32 v60, v70, v60
	;; [unrolled: 1-line block ×13, first 2 shown]
	v_add_f16_e64 v32, v129, v32
	v_add_f16_e32 v35, v90, v35
	v_add_f16_e64 v36, v130, v36
	v_add_f16_e64 v37, v135, v37
	v_add_f16_e32 v18, v94, v30
	v_add_f16_e64 v17, v141, v33
	v_add_f16_e32 v14, v15, v14
	v_add_f16_e32 v15, v16, v19
	v_mul_f16_e32 v16, 0x33a8, v53
	v_fmamk_f16 v30, v55, 0x3a95, v99
	v_mul_f16_e32 v33, 0xbbc4, v54
	v_fma_f16 v96, v52, 0x2fb7, -v96
	v_add_f16_e32 v66, v118, v104
	v_add_f16_e32 v42, v126, v59
	v_add_f16_e32 v44, v78, v60
	v_add_f16_e32 v47, v122, v64
	v_add_f16_e32 v56, v127, v65
	v_add_f16_e32 v20, v43, v20
	v_add_f16_e32 v34, v85, v34
	v_add_f16_e32 v38, v86, v38
	v_add_f16_e32 v39, v91, v39
	v_add_f16_e64 v40, v131, v41
	v_add_f16_e32 v43, v92, v45
	v_add_f16_e32 v23, v50, v25
	;; [unrolled: 1-line block ×3, first 2 shown]
	v_add_f16_e64 v25, v139, v29
	v_add_f16_e32 v22, v95, v31
	v_add_f16_e64 v28, v140, v32
	v_add_f16_e32 v29, v97, v35
	v_add_f16_e64 v19, v142, v36
	v_fma_f16 v31, v52, 0x388b, -v98
	v_fmac_f16_e32 v99, 0xba95, v55
	v_fmamk_f16 v32, v52, 0xbbc4, v16
	v_add_f16_e32 v30, v30, v37
	v_fmamk_f16 v35, v55, 0xb3a8, v33
	v_mul_f16_e32 v36, 0x3770, v53
	v_mul_f16_e32 v37, 0x3b15, v54
	v_fmac_f16_e32 v33, 0x33a8, v55
	v_add_f16_e32 v67, v119, v106
	v_add_f16_e32 v59, v123, v66
	v_add_f16_e64 v41, v136, v42
	v_add_f16_e32 v42, v87, v44
	v_add_f16_e64 v44, v132, v47
	v_add_f16_e64 v45, v137, v56
	v_add_f16_e32 v21, v96, v34
	v_add_f16_e32 v31, v31, v38
	;; [unrolled: 1-line block ×4, first 2 shown]
	v_fma_f16 v16, v52, 0xbbc4, -v16
	v_fmamk_f16 v38, v52, 0x3b15, v36
	v_fmamk_f16 v39, v55, 0xb770, v37
	v_add_f16_e32 v33, v33, v43
	v_mul_f16_e32 v40, 0xbb7b, v53
	v_sub_f16_e32 v43, v12, v13
	v_add_f16_e64 v60, v128, v67
	v_add_f16_e64 v26, v133, v59
	v_add_f16_e32 v35, v35, v41
	v_add_f16_e32 v16, v16, v42
	;; [unrolled: 1-line block ×4, first 2 shown]
	v_fmamk_f16 v41, v52, 0xb5ac, v40
	v_mul_f16_e32 v42, 0xb5ac, v54
	v_add_f16_e32 v44, v10, v11
	v_mul_f16_e32 v45, 0xb3a8, v43
	v_add_f16_e32 v12, v12, v13
	v_add_f16_e64 v27, v138, v60
	v_add_f16_e32 v20, v48, v20
	v_add_f16_e32 v26, v41, v26
	v_fmamk_f16 v41, v55, 0x3b7b, v42
	v_fma_f16 v13, v52, 0xb5ac, -v40
	v_fmac_f16_e32 v42, 0xbb7b, v55
	v_sub_f16_e32 v10, v10, v11
	v_fmamk_f16 v11, v44, 0xbbc4, v45
	v_mul_f16_e32 v40, 0xbbc4, v12
	v_add_f16_e32 v27, v41, v27
	v_add_f16_e32 v13, v13, v20
	;; [unrolled: 1-line block ×4, first 2 shown]
	v_fmamk_f16 v23, v10, 0x33a8, v40
	v_mul_f16_e32 v24, 0x3770, v43
	v_fma_f16 v41, v44, 0xbbc4, -v45
	v_fmac_f16_e32 v40, 0xb3a8, v10
	v_mul_f16_e32 v42, 0x3b15, v12
	v_add_f16_e32 v23, v23, v25
	v_fmamk_f16 v25, v44, 0x3b15, v24
	v_add_f16_e32 v18, v41, v18
	v_add_f16_e32 v22, v40, v22
	v_fmamk_f16 v40, v10, 0xb770, v42
	v_mul_f16_e32 v41, 0xb94e, v43
	v_add_f16_e32 v25, v25, v28
	v_add_f16_e32 v62, v72, v62
	v_fma_f16 v24, v44, 0x3b15, -v24
	v_add_f16_e32 v17, v40, v17
	v_fmamk_f16 v28, v44, 0xb9fd, v41
	v_mul_f16_e32 v40, 0xb9fd, v12
	v_fmac_f16_e32 v42, 0x3770, v10
	v_fma_f16 v41, v44, 0xb9fd, -v41
	v_mul_f16_e32 v45, 0x388b, v12
	v_add_f16_e32 v19, v28, v19
	v_fmamk_f16 v28, v10, 0x394e, v40
	v_fmac_f16_e32 v40, 0xb94e, v10
	v_add_f16_e32 v57, v79, v62
	v_add_f16_e32 v21, v24, v21
	;; [unrolled: 1-line block ×3, first 2 shown]
	v_mul_f16_e32 v29, 0x3a95, v43
	v_add_f16_e32 v28, v28, v30
	v_add_f16_e32 v30, v41, v31
	;; [unrolled: 1-line block ×3, first 2 shown]
	v_fmamk_f16 v34, v10, 0xba95, v45
	v_mul_f16_e32 v40, 0xbb7b, v43
	v_add_f16_e32 v63, v73, v63
	v_add_f16_e32 v46, v88, v57
	v_fma_f16 v36, v52, 0x3b15, -v36
	v_fmamk_f16 v42, v44, 0x388b, v29
	v_fma_f16 v29, v44, 0x388b, -v29
	v_fmac_f16_e32 v45, 0x3a95, v10
	v_mul_f16_e32 v41, 0xb5ac, v12
	v_add_f16_e32 v34, v34, v35
	v_fmamk_f16 v35, v44, 0xb5ac, v40
	v_add_f16_e32 v58, v83, v63
	v_add_f16_e32 v36, v36, v46
	;; [unrolled: 1-line block ×4, first 2 shown]
	v_fmamk_f16 v33, v10, 0x3b7b, v41
	v_fma_f16 v40, v44, 0xb5ac, -v40
	v_add_f16_e32 v35, v35, v38
	v_mul_f16_e32 v38, 0x3bf1, v43
	v_mul_f16_e32 v12, 0x2fb7, v12
	v_add_f16_e32 v47, v93, v58
	v_fmac_f16_e32 v37, 0x3770, v55
	v_add_f16_e32 v33, v33, v39
	v_add_f16_e32 v36, v40, v36
	v_fmamk_f16 v39, v44, 0x2fb7, v38
	v_fmamk_f16 v40, v10, 0xbbf1, v12
	v_fma_f16 v38, v44, 0x2fb7, -v38
	v_fmac_f16_e32 v12, 0x3bf1, v10
	v_add_f16_e32 v37, v37, v47
	v_fmac_f16_e32 v41, 0xbb7b, v10
	v_add_f16_e32 v32, v42, v32
	v_pack_b32_f16 v14, v14, v15
	v_pack_b32_f16 v11, v11, v23
	v_add_f16_e32 v26, v39, v26
	v_add_f16_e32 v27, v40, v27
	;; [unrolled: 1-line block ×4, first 2 shown]
	v_pack_b32_f16 v15, v25, v17
	v_pack_b32_f16 v17, v19, v28
	v_add_f16_e32 v10, v41, v37
	ds_store_2addr_b32 v4, v14, v11 offset1:78
	ds_store_2addr_b32 v4, v15, v17 offset0:156 offset1:234
	v_pack_b32_f16 v11, v32, v34
	v_pack_b32_f16 v14, v35, v33
	;; [unrolled: 1-line block ×4, first 2 shown]
	v_add_nc_u32_e32 v13, 0x600, v4
	v_pack_b32_f16 v10, v36, v10
	v_pack_b32_f16 v16, v16, v29
	;; [unrolled: 1-line block ×5, first 2 shown]
	ds_store_2addr_b32 v7, v11, v14 offset0:56 offset1:134
	ds_store_2addr_b32 v13, v15, v12 offset0:84 offset1:162
	;; [unrolled: 1-line block ×4, first 2 shown]
	ds_store_b32 v4, v18 offset:3744
	global_wb scope:SCOPE_SE
	s_wait_dscnt 0x0
	s_barrier_signal -1
	s_barrier_wait -1
	global_inv scope:SCOPE_SE
	s_and_saveexec_b32 s0, vcc_lo
	s_cbranch_execz .LBB0_27
; %bb.26:
	v_mul_lo_u32 v7, s3, v5
	v_mul_lo_u32 v8, s2, v6
	v_mad_co_u64_u32 v[5:6], null, s2, v5, 0
	v_mov_b32_e32 v4, 0
	v_lshl_add_u32 v29, v3, 2, v0
	v_lshlrev_b64_e32 v[0:1], 2, v[1:2]
	v_add_nc_u32_e32 v21, 0x1d4, v3
	v_add_nc_u32_e32 v25, 0x222, v3
	;; [unrolled: 1-line block ×3, first 2 shown]
	v_add3_u32 v6, v6, v8, v7
	v_add_nc_u32_e32 v7, 0x4e, v3
	v_dual_mov_b32 v8, v4 :: v_dual_add_nc_u32 v9, 0x9c, v3
	v_lshlrev_b64_e32 v[15:16], 2, v[3:4]
	s_delay_alu instid0(VALU_DEP_4)
	v_lshlrev_b64_e32 v[5:6], 2, v[5:6]
	v_dual_mov_b32 v10, v4 :: v_dual_add_nc_u32 v11, 0xea, v3
	ds_load_2addr_b32 v[13:14], v29 offset1:78
	v_mov_b32_e32 v20, v4
	v_mov_b32_e32 v22, v4
	v_add_co_u32 v2, vcc_lo, s6, v5
	s_wait_alu 0xfffd
	v_add_co_ci_u32_e32 v12, vcc_lo, s7, v6, vcc_lo
	v_lshlrev_b64_e32 v[5:6], 2, v[7:8]
	s_delay_alu instid0(VALU_DEP_3) | instskip(SKIP_1) | instid1(VALU_DEP_3)
	v_add_co_u32 v30, vcc_lo, v2, v0
	s_wait_alu 0xfffd
	v_add_co_ci_u32_e32 v31, vcc_lo, v12, v1, vcc_lo
	v_mov_b32_e32 v12, v4
	s_delay_alu instid0(VALU_DEP_3)
	v_add_co_u32 v7, vcc_lo, v30, v15
	v_add_nc_u32_e32 v15, 0x138, v3
	v_add_nc_u32_e32 v2, 0x400, v29
	v_lshlrev_b64_e32 v[0:1], 2, v[9:10]
	s_wait_alu 0xfffd
	v_add_co_ci_u32_e32 v8, vcc_lo, v31, v16, vcc_lo
	v_dual_mov_b32 v16, v4 :: v_dual_add_nc_u32 v19, 0x186, v3
	v_add_co_u32 v5, vcc_lo, v30, v5
	v_lshlrev_b64_e32 v[11:12], 2, v[11:12]
	ds_load_2addr_b32 v[17:18], v2 offset0:56 offset1:134
	v_add_nc_u32_e32 v2, 0x600, v29
	s_wait_alu 0xfffd
	v_add_co_ci_u32_e32 v6, vcc_lo, v31, v6, vcc_lo
	ds_load_2addr_b32 v[9:10], v29 offset0:156 offset1:234
	v_add_co_u32 v0, vcc_lo, v30, v0
	v_lshlrev_b64_e32 v[15:16], 2, v[15:16]
	s_wait_alu 0xfffd
	v_add_co_ci_u32_e32 v1, vcc_lo, v31, v1, vcc_lo
	v_add_co_u32 v11, vcc_lo, v30, v11
	v_lshlrev_b64_e32 v[19:20], 2, v[19:20]
	ds_load_2addr_b32 v[23:24], v2 offset0:84 offset1:162
	v_mov_b32_e32 v26, v4
	s_wait_alu 0xfffd
	v_add_co_ci_u32_e32 v12, vcc_lo, v31, v12, vcc_lo
	v_add_co_u32 v15, vcc_lo, v30, v15
	v_lshlrev_b64_e32 v[21:22], 2, v[21:22]
	s_wait_alu 0xfffd
	v_add_co_ci_u32_e32 v16, vcc_lo, v31, v16, vcc_lo
	v_add_co_u32 v19, vcc_lo, v30, v19
	v_lshlrev_b64_e32 v[25:26], 2, v[25:26]
	s_wait_alu 0xfffd
	v_add_co_ci_u32_e32 v20, vcc_lo, v31, v20, vcc_lo
	v_add_co_u32 v21, vcc_lo, v30, v21
	v_add_nc_u32_e32 v2, 0x800, v29
	s_wait_alu 0xfffd
	v_add_co_ci_u32_e32 v22, vcc_lo, v31, v22, vcc_lo
	v_add_co_u32 v25, vcc_lo, v30, v25
	v_mov_b32_e32 v28, v4
	s_wait_alu 0xfffd
	v_add_co_ci_u32_e32 v26, vcc_lo, v31, v26, vcc_lo
	s_wait_dscnt 0x3
	s_clause 0x1
	global_store_b32 v[7:8], v13, off
	global_store_b32 v[5:6], v14, off
	s_wait_dscnt 0x1
	s_clause 0x3
	global_store_b32 v[0:1], v9, off
	global_store_b32 v[11:12], v10, off
	;; [unrolled: 1-line block ×4, first 2 shown]
	s_wait_dscnt 0x0
	s_clause 0x1
	global_store_b32 v[21:22], v23, off
	global_store_b32 v[25:26], v24, off
	v_add_nc_u32_e32 v7, 0x2be, v3
	ds_load_2addr_b32 v[0:1], v2 offset0:112 offset1:190
	v_dual_mov_b32 v8, v4 :: v_dual_add_nc_u32 v9, 0x30c, v3
	v_add_nc_u32_e32 v2, 0xc00, v29
	v_lshlrev_b64_e32 v[5:6], 2, v[27:28]
	v_dual_mov_b32 v10, v4 :: v_dual_add_nc_u32 v13, 0x35a, v3
	s_delay_alu instid0(VALU_DEP_4)
	v_lshlrev_b64_e32 v[7:8], 2, v[7:8]
	ds_load_2addr_b32 v[11:12], v2 offset0:12 offset1:90
	v_dual_mov_b32 v14, v4 :: v_dual_add_nc_u32 v3, 0x3a8, v3
	ds_load_b32 v15, v29 offset:3744
	v_add_co_u32 v5, vcc_lo, v30, v5
	v_lshlrev_b64_e32 v[9:10], 2, v[9:10]
	s_wait_alu 0xfffd
	v_add_co_ci_u32_e32 v6, vcc_lo, v31, v6, vcc_lo
	v_add_co_u32 v7, vcc_lo, v30, v7
	v_lshlrev_b64_e32 v[13:14], 2, v[13:14]
	s_wait_alu 0xfffd
	v_add_co_ci_u32_e32 v8, vcc_lo, v31, v8, vcc_lo
	;; [unrolled: 4-line block ×3, first 2 shown]
	v_add_co_u32 v13, vcc_lo, v30, v13
	s_wait_alu 0xfffd
	v_add_co_ci_u32_e32 v14, vcc_lo, v31, v14, vcc_lo
	v_add_co_u32 v2, vcc_lo, v30, v2
	s_wait_alu 0xfffd
	v_add_co_ci_u32_e32 v3, vcc_lo, v31, v3, vcc_lo
	s_wait_dscnt 0x2
	s_clause 0x1
	global_store_b32 v[5:6], v0, off
	global_store_b32 v[7:8], v1, off
	s_wait_dscnt 0x1
	s_clause 0x1
	global_store_b32 v[9:10], v11, off
	global_store_b32 v[13:14], v12, off
	s_wait_dscnt 0x0
	global_store_b32 v[2:3], v15, off
.LBB0_27:
	s_nop 0
	s_sendmsg sendmsg(MSG_DEALLOC_VGPRS)
	s_endpgm
	.section	.rodata,"a",@progbits
	.p2align	6, 0x0
	.amdhsa_kernel fft_rtc_back_len1014_factors_13_6_13_wgs_156_tpt_78_half_op_CI_CI_unitstride_sbrr_C2R_dirReg
		.amdhsa_group_segment_fixed_size 0
		.amdhsa_private_segment_fixed_size 0
		.amdhsa_kernarg_size 104
		.amdhsa_user_sgpr_count 2
		.amdhsa_user_sgpr_dispatch_ptr 0
		.amdhsa_user_sgpr_queue_ptr 0
		.amdhsa_user_sgpr_kernarg_segment_ptr 1
		.amdhsa_user_sgpr_dispatch_id 0
		.amdhsa_user_sgpr_private_segment_size 0
		.amdhsa_wavefront_size32 1
		.amdhsa_uses_dynamic_stack 0
		.amdhsa_enable_private_segment 0
		.amdhsa_system_sgpr_workgroup_id_x 1
		.amdhsa_system_sgpr_workgroup_id_y 0
		.amdhsa_system_sgpr_workgroup_id_z 0
		.amdhsa_system_sgpr_workgroup_info 0
		.amdhsa_system_vgpr_workitem_id 0
		.amdhsa_next_free_vgpr 143
		.amdhsa_next_free_sgpr 39
		.amdhsa_reserve_vcc 1
		.amdhsa_float_round_mode_32 0
		.amdhsa_float_round_mode_16_64 0
		.amdhsa_float_denorm_mode_32 3
		.amdhsa_float_denorm_mode_16_64 3
		.amdhsa_fp16_overflow 0
		.amdhsa_workgroup_processor_mode 1
		.amdhsa_memory_ordered 1
		.amdhsa_forward_progress 0
		.amdhsa_round_robin_scheduling 0
		.amdhsa_exception_fp_ieee_invalid_op 0
		.amdhsa_exception_fp_denorm_src 0
		.amdhsa_exception_fp_ieee_div_zero 0
		.amdhsa_exception_fp_ieee_overflow 0
		.amdhsa_exception_fp_ieee_underflow 0
		.amdhsa_exception_fp_ieee_inexact 0
		.amdhsa_exception_int_div_zero 0
	.end_amdhsa_kernel
	.text
.Lfunc_end0:
	.size	fft_rtc_back_len1014_factors_13_6_13_wgs_156_tpt_78_half_op_CI_CI_unitstride_sbrr_C2R_dirReg, .Lfunc_end0-fft_rtc_back_len1014_factors_13_6_13_wgs_156_tpt_78_half_op_CI_CI_unitstride_sbrr_C2R_dirReg
                                        ; -- End function
	.section	.AMDGPU.csdata,"",@progbits
; Kernel info:
; codeLenInByte = 12812
; NumSgprs: 41
; NumVgprs: 143
; ScratchSize: 0
; MemoryBound: 0
; FloatMode: 240
; IeeeMode: 1
; LDSByteSize: 0 bytes/workgroup (compile time only)
; SGPRBlocks: 5
; VGPRBlocks: 17
; NumSGPRsForWavesPerEU: 41
; NumVGPRsForWavesPerEU: 143
; Occupancy: 10
; WaveLimiterHint : 1
; COMPUTE_PGM_RSRC2:SCRATCH_EN: 0
; COMPUTE_PGM_RSRC2:USER_SGPR: 2
; COMPUTE_PGM_RSRC2:TRAP_HANDLER: 0
; COMPUTE_PGM_RSRC2:TGID_X_EN: 1
; COMPUTE_PGM_RSRC2:TGID_Y_EN: 0
; COMPUTE_PGM_RSRC2:TGID_Z_EN: 0
; COMPUTE_PGM_RSRC2:TIDIG_COMP_CNT: 0
	.text
	.p2alignl 7, 3214868480
	.fill 96, 4, 3214868480
	.type	__hip_cuid_52c5c4e33a86891a,@object ; @__hip_cuid_52c5c4e33a86891a
	.section	.bss,"aw",@nobits
	.globl	__hip_cuid_52c5c4e33a86891a
__hip_cuid_52c5c4e33a86891a:
	.byte	0                               ; 0x0
	.size	__hip_cuid_52c5c4e33a86891a, 1

	.ident	"AMD clang version 19.0.0git (https://github.com/RadeonOpenCompute/llvm-project roc-6.4.0 25133 c7fe45cf4b819c5991fe208aaa96edf142730f1d)"
	.section	".note.GNU-stack","",@progbits
	.addrsig
	.addrsig_sym __hip_cuid_52c5c4e33a86891a
	.amdgpu_metadata
---
amdhsa.kernels:
  - .args:
      - .actual_access:  read_only
        .address_space:  global
        .offset:         0
        .size:           8
        .value_kind:     global_buffer
      - .offset:         8
        .size:           8
        .value_kind:     by_value
      - .actual_access:  read_only
        .address_space:  global
        .offset:         16
        .size:           8
        .value_kind:     global_buffer
      - .actual_access:  read_only
        .address_space:  global
        .offset:         24
        .size:           8
        .value_kind:     global_buffer
      - .actual_access:  read_only
        .address_space:  global
        .offset:         32
        .size:           8
        .value_kind:     global_buffer
      - .offset:         40
        .size:           8
        .value_kind:     by_value
      - .actual_access:  read_only
        .address_space:  global
        .offset:         48
        .size:           8
        .value_kind:     global_buffer
      - .actual_access:  read_only
        .address_space:  global
        .offset:         56
        .size:           8
        .value_kind:     global_buffer
      - .offset:         64
        .size:           4
        .value_kind:     by_value
      - .actual_access:  read_only
        .address_space:  global
        .offset:         72
        .size:           8
        .value_kind:     global_buffer
      - .actual_access:  read_only
        .address_space:  global
        .offset:         80
        .size:           8
        .value_kind:     global_buffer
      - .actual_access:  read_only
        .address_space:  global
        .offset:         88
        .size:           8
        .value_kind:     global_buffer
      - .actual_access:  write_only
        .address_space:  global
        .offset:         96
        .size:           8
        .value_kind:     global_buffer
    .group_segment_fixed_size: 0
    .kernarg_segment_align: 8
    .kernarg_segment_size: 104
    .language:       OpenCL C
    .language_version:
      - 2
      - 0
    .max_flat_workgroup_size: 156
    .name:           fft_rtc_back_len1014_factors_13_6_13_wgs_156_tpt_78_half_op_CI_CI_unitstride_sbrr_C2R_dirReg
    .private_segment_fixed_size: 0
    .sgpr_count:     41
    .sgpr_spill_count: 0
    .symbol:         fft_rtc_back_len1014_factors_13_6_13_wgs_156_tpt_78_half_op_CI_CI_unitstride_sbrr_C2R_dirReg.kd
    .uniform_work_group_size: 1
    .uses_dynamic_stack: false
    .vgpr_count:     143
    .vgpr_spill_count: 0
    .wavefront_size: 32
    .workgroup_processor_mode: 1
amdhsa.target:   amdgcn-amd-amdhsa--gfx1201
amdhsa.version:
  - 1
  - 2
...

	.end_amdgpu_metadata
